;; amdgpu-corpus repo=ROCm/rocFFT kind=compiled arch=gfx1201 opt=O3
	.text
	.amdgcn_target "amdgcn-amd-amdhsa--gfx1201"
	.amdhsa_code_object_version 6
	.protected	bluestein_single_back_len816_dim1_half_op_CI_CI ; -- Begin function bluestein_single_back_len816_dim1_half_op_CI_CI
	.globl	bluestein_single_back_len816_dim1_half_op_CI_CI
	.p2align	8
	.type	bluestein_single_back_len816_dim1_half_op_CI_CI,@function
bluestein_single_back_len816_dim1_half_op_CI_CI: ; @bluestein_single_back_len816_dim1_half_op_CI_CI
; %bb.0:
	s_load_b128 s[4:7], s[0:1], 0x28
	v_mul_u32_u24_e32 v1, 0x506, v0
	s_mov_b32 s2, exec_lo
	v_mov_b32_e32 v228, 0
	s_delay_alu instid0(VALU_DEP_2) | instskip(NEXT) | instid1(VALU_DEP_1)
	v_lshrrev_b32_e32 v3, 16, v1
	v_add_nc_u32_e32 v227, ttmp9, v3
	s_wait_kmcnt 0x0
	s_delay_alu instid0(VALU_DEP_1)
	v_cmpx_gt_u64_e64 s[4:5], v[227:228]
	s_cbranch_execz .LBB0_23
; %bb.1:
	v_mul_lo_u16 v2, v3, 51
	s_clause 0x1
	s_load_b64 s[12:13], s[0:1], 0x0
	s_load_b64 s[14:15], s[0:1], 0x38
	s_delay_alu instid0(VALU_DEP_1) | instskip(NEXT) | instid1(VALU_DEP_1)
	v_sub_nc_u16 v0, v0, v2
	v_and_b32_e32 v34, 0xffff, v0
	v_cmp_gt_u16_e32 vcc_lo, 48, v0
	s_delay_alu instid0(VALU_DEP_2)
	v_lshlrev_b32_e32 v30, 2, v34
	v_or_b32_e32 v226, 0xc0, v34
	v_or_b32_e32 v225, 0x180, v34
	;; [unrolled: 1-line block ×4, first 2 shown]
	s_and_saveexec_b32 s3, vcc_lo
	s_cbranch_execz .LBB0_3
; %bb.2:
	s_load_b64 s[4:5], s[0:1], 0x18
	v_add_nc_u32_e32 v43, 0x800, v30
	s_wait_kmcnt 0x0
	s_load_b128 s[8:11], s[4:5], 0x0
	s_clause 0x10
	global_load_b32 v21, v30, s[12:13]
	global_load_b32 v22, v30, s[12:13] offset:192
	global_load_b32 v23, v30, s[12:13] offset:384
	;; [unrolled: 1-line block ×16, first 2 shown]
	s_wait_kmcnt 0x0
	v_mad_co_u64_u32 v[2:3], null, s10, v227, 0
	v_mad_co_u64_u32 v[4:5], null, s8, v34, 0
	;; [unrolled: 1-line block ×8, first 2 shown]
	s_delay_alu instid0(VALU_DEP_4) | instskip(NEXT) | instid1(VALU_DEP_4)
	v_mad_co_u64_u32 v[16:17], null, s9, v225, v[9:10]
	v_mad_co_u64_u32 v[17:18], null, s9, v224, v[11:12]
	s_delay_alu instid0(VALU_DEP_4) | instskip(SKIP_3) | instid1(VALU_DEP_4)
	v_mov_b32_e32 v3, v14
	v_mad_co_u64_u32 v[18:19], null, s9, v223, v[13:14]
	v_mov_b32_e32 v5, v15
	v_mov_b32_e32 v9, v16
	v_lshlrev_b64_e32 v[2:3], 2, v[2:3]
	v_mov_b32_e32 v11, v17
	v_mad_co_u64_u32 v[19:20], null, s9, v226, v[7:8]
	v_lshlrev_b64_e32 v[4:5], 2, v[4:5]
	v_lshlrev_b64_e32 v[7:8], 2, v[8:9]
	s_delay_alu instid0(VALU_DEP_4) | instskip(SKIP_1) | instid1(VALU_DEP_1)
	v_lshlrev_b64_e32 v[9:10], 2, v[10:11]
	v_add_co_u32 v11, s2, s6, v2
	v_add_co_ci_u32_e64 v14, s2, s7, v3, s2
	v_mov_b32_e32 v13, v18
	s_delay_alu instid0(VALU_DEP_3) | instskip(SKIP_1) | instid1(VALU_DEP_3)
	v_add_co_u32 v4, s2, v11, v4
	s_wait_alu 0xf1ff
	v_add_co_ci_u32_e64 v5, s2, v14, v5, s2
	s_delay_alu instid0(VALU_DEP_3)
	v_lshlrev_b64_e32 v[2:3], 2, v[12:13]
	v_add_co_u32 v7, s2, v11, v7
	s_wait_alu 0xf1ff
	v_add_co_ci_u32_e64 v8, s2, v14, v8, s2
	v_add_co_u32 v9, s2, v11, v9
	s_wait_alu 0xf1ff
	v_add_co_ci_u32_e64 v10, s2, v14, v10, s2
	v_add_co_u32 v2, s2, v11, v2
	s_mul_u64 s[4:5], s[8:9], 0xc0
	v_add_co_ci_u32_e64 v3, s2, v14, v3, s2
	s_clause 0x2
	global_load_b32 v12, v[4:5], off
	global_load_b32 v8, v[7:8], off
	;; [unrolled: 1-line block ×3, first 2 shown]
	s_wait_alu 0xfffe
	v_add_co_u32 v4, s2, v4, s4
	s_wait_alu 0xf1ff
	v_add_co_ci_u32_e64 v5, s2, s5, v5, s2
	v_mov_b32_e32 v7, v19
	global_load_b32 v10, v[2:3], off
	s_mul_u64 s[6:7], s[8:9], 0x180
	global_load_b32 v13, v[4:5], off
	v_add_co_u32 v2, s2, v4, s4
	s_wait_alu 0xf1ff
	v_add_co_ci_u32_e64 v3, s2, s5, v5, s2
	v_lshlrev_b64_e32 v[4:5], 2, v[6:7]
	global_load_b32 v6, v[2:3], off
	v_add_co_u32 v2, s2, v2, s4
	s_wait_alu 0xf1ff
	v_add_co_ci_u32_e64 v3, s2, s5, v3, s2
	v_add_co_u32 v4, s2, v11, v4
	s_wait_alu 0xf1ff
	v_add_co_ci_u32_e64 v5, s2, v14, v5, s2
	s_clause 0x1
	global_load_b32 v7, v[2:3], off
	global_load_b32 v11, v[4:5], off
	s_wait_alu 0xfffe
	v_add_co_u32 v2, s2, v2, s6
	s_wait_alu 0xf1ff
	v_add_co_ci_u32_e64 v3, s2, s7, v3, s2
	global_load_b32 v14, v[2:3], off
	v_add_co_u32 v2, s2, v2, s4
	s_wait_alu 0xf1ff
	v_add_co_ci_u32_e64 v3, s2, s5, v3, s2
	s_delay_alu instid0(VALU_DEP_2) | instskip(SKIP_1) | instid1(VALU_DEP_2)
	v_add_co_u32 v4, s2, v2, s4
	s_wait_alu 0xf1ff
	v_add_co_ci_u32_e64 v5, s2, s5, v3, s2
	global_load_b32 v15, v[2:3], off
	global_load_b32 v16, v[4:5], off
	v_add_co_u32 v2, s2, v4, s6
	s_wait_alu 0xf1ff
	v_add_co_ci_u32_e64 v3, s2, s7, v5, s2
	s_delay_alu instid0(VALU_DEP_2) | instskip(SKIP_1) | instid1(VALU_DEP_2)
	v_add_co_u32 v4, s2, v2, s4
	s_wait_alu 0xf1ff
	v_add_co_ci_u32_e64 v5, s2, s5, v3, s2
	global_load_b32 v17, v[2:3], off
	v_add_co_u32 v2, s2, v4, s4
	s_wait_alu 0xf1ff
	v_add_co_ci_u32_e64 v3, s2, s5, v5, s2
	global_load_b32 v18, v[4:5], off
	v_add_co_u32 v4, s2, v2, s6
	s_wait_alu 0xf1ff
	v_add_co_ci_u32_e64 v5, s2, s7, v3, s2
	global_load_b32 v19, v[2:3], off
	v_add_co_u32 v2, s2, v4, s4
	s_wait_alu 0xf1ff
	v_add_co_ci_u32_e64 v3, s2, s5, v5, s2
	global_load_b32 v20, v[4:5], off
	v_add_co_u32 v4, s2, v2, s4
	s_wait_alu 0xf1ff
	v_add_co_ci_u32_e64 v5, s2, s5, v3, s2
	global_load_b32 v2, v[2:3], off
	global_load_b32 v3, v[4:5], off
	v_add_nc_u32_e32 v4, 0x400, v30
	v_add_nc_u32_e32 v5, 0x600, v30
	s_wait_loadcnt 0x21
	v_lshrrev_b32_e32 v44, 16, v21
	s_wait_loadcnt 0x20
	v_lshrrev_b32_e32 v45, 16, v22
	;; [unrolled: 2-line block ×18, first 2 shown]
	v_mul_f16_e32 v62, v44, v12
	s_wait_loadcnt 0xf
	v_lshrrev_b32_e32 v63, 16, v8
	s_wait_loadcnt 0xe
	v_lshrrev_b32_e32 v65, 16, v9
	v_mul_f16_e32 v64, v52, v8
	v_mul_f16_e32 v44, v44, v61
	v_fma_f16 v61, v21, v61, -v62
	v_mul_f16_e32 v66, v56, v9
	s_wait_loadcnt 0xd
	v_lshrrev_b32_e32 v67, 16, v10
	v_mul_f16_e32 v52, v52, v63
	s_wait_loadcnt 0xc
	v_lshrrev_b32_e32 v62, 16, v13
	v_mul_f16_e32 v69, v45, v13
	v_mul_f16_e32 v56, v56, v65
	v_fmac_f16_e32 v44, v21, v12
	v_mul_f16_e32 v68, v60, v10
	v_mul_f16_e32 v12, v45, v62
	v_fma_f16 v63, v29, v63, -v64
	v_mul_f16_e32 v60, v60, v67
	s_wait_loadcnt 0xb
	v_lshrrev_b32_e32 v45, 16, v6
	v_fma_f16 v21, v22, v62, -v69
	v_mul_f16_e32 v62, v46, v6
	v_fmac_f16_e32 v52, v29, v8
	v_fmac_f16_e32 v56, v38, v9
	;; [unrolled: 1-line block ×3, first 2 shown]
	v_mul_f16_e32 v9, v46, v45
	v_fma_f16 v64, v38, v65, -v66
	v_fmac_f16_e32 v60, v42, v10
	s_wait_loadcnt 0xa
	v_lshrrev_b32_e32 v13, 16, v7
	v_pack_b32_f16 v8, v44, v61
	v_fma_f16 v10, v23, v45, -v62
	s_wait_loadcnt 0x9
	v_lshrrev_b32_e32 v29, 16, v11
	v_mul_f16_e32 v22, v47, v7
	v_mul_f16_e32 v38, v48, v11
	v_pack_b32_f16 v12, v12, v21
	v_fmac_f16_e32 v9, v23, v6
	v_mul_f16_e32 v6, v47, v13
	v_mul_f16_e32 v21, v48, v29
	v_fma_f16 v13, v24, v13, -v22
	s_wait_loadcnt 0x8
	v_lshrrev_b32_e32 v23, 16, v14
	v_fma_f16 v22, v25, v29, -v38
	v_mul_f16_e32 v29, v49, v14
	ds_store_2addr_b32 v30, v8, v12 offset1:48
	v_pack_b32_f16 v8, v9, v10
	v_fmac_f16_e32 v6, v24, v7
	v_fmac_f16_e32 v21, v25, v11
	v_mul_f16_e32 v7, v49, v23
	v_fma_f16 v9, v26, v23, -v29
	v_fma_f16 v65, v42, v67, -v68
	v_pack_b32_f16 v6, v6, v13
	s_wait_loadcnt 0x7
	v_lshrrev_b32_e32 v10, 16, v15
	v_mul_f16_e32 v11, v50, v15
	v_fmac_f16_e32 v7, v26, v14
	s_wait_loadcnt 0x6
	v_mul_f16_e32 v14, v51, v16
	v_pack_b32_f16 v12, v21, v22
	v_mul_f16_e32 v13, v50, v10
	v_fma_f16 v10, v27, v10, -v11
	v_lshrrev_b32_e32 v11, 16, v16
	ds_store_2addr_b32 v30, v8, v6 offset0:96 offset1:144
	v_pack_b32_f16 v6, v7, v9
	v_fmac_f16_e32 v13, v27, v15
	s_wait_loadcnt 0x5
	v_lshrrev_b32_e32 v9, 16, v17
	v_mul_f16_e32 v7, v51, v11
	v_fma_f16 v8, v28, v11, -v14
	v_mul_f16_e32 v11, v53, v17
	ds_store_2addr_b32 v30, v12, v6 offset0:192 offset1:240
	v_pack_b32_f16 v6, v13, v10
	v_fmac_f16_e32 v7, v28, v16
	v_mul_f16_e32 v10, v53, v9
	v_fma_f16 v9, v35, v9, -v11
	s_wait_loadcnt 0x4
	v_lshrrev_b32_e32 v11, 16, v18
	v_mul_f16_e32 v12, v54, v18
	v_pack_b32_f16 v7, v7, v8
	v_fmac_f16_e32 v10, v35, v17
	s_wait_loadcnt 0x3
	v_lshrrev_b32_e32 v8, 16, v19
	v_mul_f16_e32 v13, v54, v11
	v_fma_f16 v11, v36, v11, -v12
	v_mul_f16_e32 v12, v55, v19
	s_wait_loadcnt 0x2
	v_lshrrev_b32_e32 v14, 16, v20
	v_pack_b32_f16 v9, v10, v9
	v_mul_f16_e32 v10, v55, v8
	v_fmac_f16_e32 v13, v36, v18
	v_fma_f16 v8, v37, v8, -v12
	v_mul_f16_e32 v12, v57, v20
	s_wait_loadcnt 0x1
	v_lshrrev_b32_e32 v15, 16, v2
	s_wait_loadcnt 0x0
	v_lshrrev_b32_e32 v17, 16, v3
	v_mul_f16_e32 v16, v57, v14
	v_fmac_f16_e32 v10, v37, v19
	v_fma_f16 v12, v39, v14, -v12
	v_mul_f16_e32 v14, v58, v2
	v_mul_f16_e32 v18, v58, v15
	;; [unrolled: 1-line block ×4, first 2 shown]
	v_fmac_f16_e32 v16, v39, v20
	v_fma_f16 v14, v40, v15, -v14
	v_fmac_f16_e32 v18, v40, v2
	v_fma_f16 v2, v41, v17, -v19
	v_fmac_f16_e32 v21, v41, v3
	v_pack_b32_f16 v42, v52, v63
	v_pack_b32_f16 v3, v13, v11
	;; [unrolled: 1-line block ×8, first 2 shown]
	ds_store_2addr_b32 v4, v6, v7 offset0:32 offset1:80
	ds_store_2addr_b32 v4, v42, v9 offset0:128 offset1:176
	;; [unrolled: 1-line block ×5, first 2 shown]
	ds_store_b32 v30, v45 offset:3072
.LBB0_3:
	s_or_b32 exec_lo, exec_lo, s3
	s_clause 0x1
	s_load_b64 s[4:5], s[0:1], 0x20
	s_load_b64 s[2:3], s[0:1], 0x8
	v_mov_b32_e32 v10, 0
                                        ; kill: def $vgpr2 killed $sgpr0 killed $exec
	global_wb scope:SCOPE_SE
	s_wait_dscnt 0x0
	s_wait_kmcnt 0x0
	s_barrier_signal -1
	s_barrier_wait -1
	global_inv scope:SCOPE_SE
                                        ; implicit-def: $vgpr18
                                        ; implicit-def: $vgpr3
                                        ; implicit-def: $vgpr5
                                        ; implicit-def: $vgpr7
                                        ; implicit-def: $vgpr9
                                        ; implicit-def: $vgpr13
                                        ; implicit-def: $vgpr17
                                        ; implicit-def: $vgpr15
                                        ; implicit-def: $vgpr67
	s_and_saveexec_b32 s0, vcc_lo
	s_cbranch_execz .LBB0_5
; %bb.4:
	v_add_nc_u32_e32 v2, 0x400, v30
	v_add_nc_u32_e32 v3, 0x600, v30
	;; [unrolled: 1-line block ×3, first 2 shown]
	ds_load_2addr_b32 v[10:11], v30 offset1:48
	ds_load_2addr_b32 v[14:15], v30 offset0:96 offset1:144
	ds_load_2addr_b32 v[16:17], v30 offset0:192 offset1:240
	;; [unrolled: 1-line block ×7, first 2 shown]
	ds_load_b32 v18, v30 offset:3072
	s_wait_dscnt 0x7
	v_alignbit_b32 v67, v14, v14, 16
.LBB0_5:
	s_wait_alu 0xfffe
	s_or_b32 exec_lo, exec_lo, s0
	s_wait_dscnt 0x0
	v_pk_add_f16 v14, v11, v18 neg_lo:[0,1] neg_hi:[0,1]
	v_pk_add_f16 v24, v67, v3 op_sel:[1,0] op_sel_hi:[0,1] neg_lo:[0,1] neg_hi:[0,1]
	v_pk_add_f16 v23, v18, v11
	v_pk_add_f16 v19, v3, v67 op_sel:[1,0] op_sel_hi:[0,1]
	v_pk_add_f16 v20, v15, v2 neg_lo:[0,1] neg_hi:[0,1]
	v_lshrrev_b32_e32 v87, 16, v14
	v_lshrrev_b32_e32 v80, 16, v24
	;; [unrolled: 1-line block ×3, first 2 shown]
	v_mul_f16_e32 v53, 0xb5c8, v14
	v_lshrrev_b32_e32 v59, 16, v19
	v_mul_f16_e32 v88, 0xb5c8, v87
	v_mul_f16_e32 v43, 0xb964, v80
	v_lshrrev_b32_e32 v81, 16, v20
	v_lshrrev_b32_e32 v45, 16, v10
	v_pk_add_f16 v22, v2, v15
	v_fmamk_f16 v25, v23, 0x3b76, v88
	v_mul_f16_e32 v50, 0xb964, v24
	v_fma_f16 v26, v60, 0x3b76, -v53
	v_fmamk_f16 v27, v59, 0x39e9, v43
	v_mul_f16_e32 v42, 0xbb29, v81
	v_add_f16_e32 v25, v25, v10
	v_pk_add_f16 v21, v16, v5 neg_lo:[0,1] neg_hi:[0,1]
	v_fma_f16 v28, v19, 0x39e9, -v50
	v_add_f16_e32 v26, v26, v45
	v_lshrrev_b32_e32 v61, 16, v22
	v_add_f16_e32 v25, v27, v25
	v_fmamk_f16 v27, v22, 0x3722, v42
	v_mul_f16_e32 v51, 0xbb29, v20
	v_add_f16_e32 v28, v28, v26
	v_lshrrev_b32_e32 v83, 16, v21
	v_pk_add_f16 v26, v5, v16
	v_add_f16_e32 v29, v27, v25
	v_fma_f16 v27, v61, 0x3722, -v51
	v_pk_add_f16 v25, v17, v4 neg_lo:[0,1] neg_hi:[0,1]
	v_mul_f16_e32 v44, 0xbbf7, v83
	v_lshrrev_b32_e32 v63, 16, v26
	v_mul_f16_e32 v55, 0xbbf7, v21
	v_add_f16_e32 v28, v27, v28
	v_lshrrev_b32_e32 v82, 16, v25
	v_pk_add_f16 v36, v4, v17
	v_pk_add_f16 v27, v12, v7 neg_lo:[0,1] neg_hi:[0,1]
	v_fmamk_f16 v35, v26, 0x2de8, v44
	v_fma_f16 v37, v63, 0x2de8, -v55
	v_mul_f16_e32 v46, 0xbbb2, v82
	v_lshrrev_b32_e32 v64, 16, v36
	v_mul_f16_e32 v57, 0xbbb2, v25
	v_lshrrev_b32_e32 v84, 16, v27
	v_add_f16_e32 v29, v35, v29
	v_add_f16_e32 v28, v37, v28
	v_fmamk_f16 v35, v36, 0xb461, v46
	v_fma_f16 v37, v64, 0xb461, -v57
	v_pk_add_f16 v39, v7, v12
	v_mul_f16_e32 v47, 0xba62, v84
	v_pk_add_f16 v38, v13, v6 neg_lo:[0,1] neg_hi:[0,1]
	v_add_f16_e32 v29, v35, v29
	v_add_f16_e32 v28, v37, v28
	v_lshrrev_b32_e32 v65, 16, v39
	v_fmamk_f16 v35, v39, 0xb8d2, v47
	v_mul_f16_e32 v58, 0xba62, v27
	v_lshrrev_b32_e32 v86, 16, v38
	v_pk_add_f16 v40, v6, v13
	v_pk_add_f16 v37, v8, v9 neg_lo:[0,1] neg_hi:[0,1]
	v_add_f16_e32 v29, v35, v29
	v_fma_f16 v35, v65, 0xb8d2, -v58
	v_mul_f16_e32 v48, 0xb836, v86
	v_lshrrev_b32_e32 v66, 16, v40
	v_mul_f16_e32 v56, 0xb836, v38
	v_lshrrev_b32_e32 v85, 16, v37
	v_pk_add_f16 v41, v9, v8
	v_add_f16_e32 v28, v35, v28
	v_fmamk_f16 v35, v40, 0xbacd, v48
	v_fma_f16 v52, v66, 0xbacd, -v56
	v_mul_f16_e32 v49, 0xb1e1, v85
	v_lshrrev_b32_e32 v62, 16, v41
	v_mul_f16_e32 v54, 0xb1e1, v37
	v_add_f16_e32 v29, v35, v29
	v_add_f16_e32 v35, v52, v28
	v_fmamk_f16 v28, v41, 0xbbdd, v49
	v_mul_lo_u16 v0, v34, 17
	v_fma_f16 v52, v62, 0xbbdd, -v54
	global_wb scope:SCOPE_SE
	s_barrier_signal -1
	v_add_f16_e32 v28, v28, v29
	s_barrier_wait -1
	v_add_f16_e32 v29, v52, v35
	global_inv scope:SCOPE_SE
	s_and_saveexec_b32 s0, vcc_lo
	s_cbranch_execz .LBB0_7
; %bb.6:
	v_mul_f16_e32 v89, 0xb964, v87
	v_alignbit_b32 v90, v67, v67, 16
	v_mul_f16_e32 v73, 0xbbf7, v80
	v_mul_f16_e32 v72, 0xba62, v81
	;; [unrolled: 1-line block ×3, first 2 shown]
	v_fmamk_f16 v67, v23, 0x39e9, v89
	v_mul_f16_e32 v71, 0xb1e1, v83
	v_fmamk_f16 v74, v59, 0x2de8, v73
	v_fmamk_f16 v77, v22, 0xb8d2, v72
	v_mul_f16_e32 v78, 0xb8d2, v19
	v_add_f16_e32 v75, v67, v10
	v_mul_f16_e32 v70, 0x3836, v82
	v_mul_f16_e32 v76, 0xbbdd, v61
	v_fmamk_f16 v91, v26, 0xbbdd, v71
	v_fmamk_f16 v92, v24, 0x3a62, v78
	v_add_f16_e32 v74, v74, v75
	v_fmamk_f16 v75, v14, 0x3b29, v79
	v_alignbit_b32 v52, v10, v10, 16
	v_mul_f16_e32 v69, 0x3bb2, v84
	v_fmamk_f16 v94, v36, 0xbacd, v70
	v_add_f16_e32 v77, v77, v74
	v_add_f16_e32 v93, v75, v45
	v_mul_f16_e32 v74, 0xb461, v63
	v_mul_f16_e32 v68, 0x3b29, v86
	;; [unrolled: 1-line block ×3, first 2 shown]
	v_add_f16_e32 v77, v91, v77
	v_fmamk_f16 v91, v20, 0xb1e1, v76
	v_add_f16_e32 v92, v92, v93
	v_fmamk_f16 v93, v39, 0xb461, v69
	v_fmamk_f16 v95, v21, 0xbbb2, v74
	v_add_f16_e32 v94, v94, v77
	v_pk_add_f16 v11, v11, v52 op_sel:[0,1] op_sel_hi:[1,0]
	v_add_f16_e32 v91, v91, v92
	v_mul_f16_e32 v67, 0x35c8, v85
	v_mul_f16_e32 v77, 0x3b76, v65
	v_fmamk_f16 v92, v40, 0x3722, v68
	v_add_f16_e32 v93, v93, v94
	v_fmamk_f16 v94, v25, 0xb964, v75
	v_add_f16_e32 v91, v95, v91
	v_pk_add_f16 v90, v90, v11
	v_fmamk_f16 v95, v41, 0x3b76, v67
	v_add_f16_e32 v92, v92, v93
	v_fmamk_f16 v93, v27, 0x35c8, v77
	v_add_f16_e32 v91, v94, v91
	v_pk_add_f16 v90, v15, v90
	v_mul_f16_e32 v100, 0x2de8, v60
	v_add_f16_e32 v11, v95, v92
	v_mul_f16_e32 v92, 0xbbf7, v87
	v_add_f16_e32 v91, v93, v91
	v_mul_f16_e32 v93, 0xbbb2, v87
	v_pk_add_f16 v16, v16, v90
	v_mul_f16_e32 v90, 0xba62, v87
	v_mul_f16_e32 v87, 0xb836, v87
	;; [unrolled: 1-line block ×3, first 2 shown]
	v_fmamk_f16 v95, v23, 0x2de8, v92
	v_pk_add_f16 v97, v17, v16
	v_fmamk_f16 v16, v23, 0xb8d2, v90
	v_fmamk_f16 v17, v23, 0xbacd, v87
	;; [unrolled: 1-line block ×3, first 2 shown]
	v_mul_f16_e32 v15, 0x2de8, v66
	v_sub_f16_e32 v88, v94, v88
	v_add_f16_e32 v98, v16, v10
	v_add_f16_e32 v99, v17, v10
	v_fma_f16 v16, v23, 0xbacd, -v87
	v_fma_f16 v17, v23, 0xb8d2, -v90
	v_fma_f16 v87, v23, 0xb461, -v93
	v_fma_f16 v90, v23, 0x2de8, -v92
	v_fmamk_f16 v92, v14, 0x3bf7, v100
	v_mul_f16_e32 v93, 0xbbdd, v19
	v_fma_f16 v89, v23, 0x39e9, -v89
	v_add_f16_e32 v101, v16, v10
	v_add_f16_e32 v102, v17, v10
	v_add_f16_e32 v16, v92, v45
	v_fmamk_f16 v17, v24, 0x31e1, v93
	v_mul_f16_e32 v92, 0xb461, v61
	v_fmamk_f16 v94, v38, 0x3bf7, v15
	v_add_f16_e32 v95, v95, v10
	v_add_f16_e32 v96, v96, v10
	;; [unrolled: 1-line block ×6, first 2 shown]
	v_fmamk_f16 v104, v20, 0xbbb2, v92
	v_mul_f16_e32 v105, 0x3b76, v63
	v_add_f16_e32 v16, v88, v10
	v_mul_f16_e32 v17, 0xbacd, v62
	v_pk_add_f16 v10, v12, v97
	v_add_f16_e32 v12, v104, v87
	v_fmamk_f16 v87, v21, 0xb5c8, v105
	v_mul_f16_e32 v97, 0x3722, v64
	v_add_f16_e32 v88, v94, v91
	v_fmamk_f16 v91, v37, 0x3836, v17
	v_pk_add_f16 v13, v13, v10
	v_add_f16_e32 v12, v87, v12
	v_fmamk_f16 v87, v25, 0x3b29, v97
	v_mul_f16_e32 v94, 0xbacd, v65
	v_add_f16_e32 v10, v91, v88
	v_pk_add_f16 v8, v8, v13
	v_mul_f16_e32 v91, 0xb1e1, v80
	v_add_f16_e32 v12, v87, v12
	v_fmamk_f16 v13, v27, 0x3836, v94
	v_mul_f16_e32 v106, 0x3bb2, v81
	v_pk_add_f16 v88, v9, v8
	v_fmamk_f16 v9, v59, 0xbbdd, v91
	v_mul_f16_e32 v109, 0xbb29, v82
	v_add_f16_e32 v8, v13, v12
	v_fmamk_f16 v13, v22, 0xb461, v106
	v_mul_f16_e32 v111, 0xb836, v84
	v_add_f16_e32 v9, v9, v95
	v_mul_f16_e32 v95, 0x35c8, v83
	v_mul_f16_e32 v113, 0x3a62, v86
	;; [unrolled: 1-line block ×4, first 2 shown]
	v_add_f16_e32 v9, v13, v9
	v_fmamk_f16 v13, v26, 0x3b76, v95
	v_mul_f16_e32 v119, 0x3964, v81
	v_mul_f16_e32 v104, 0xb461, v60
	;; [unrolled: 1-line block ×4, first 2 shown]
	v_add_f16_e32 v9, v13, v9
	v_fmamk_f16 v13, v36, 0x3722, v109
	v_fmamk_f16 v12, v14, 0x3bb2, v104
	v_mul_f16_e32 v123, 0xb1e1, v82
	v_fmamk_f16 v87, v24, 0xb836, v107
	v_mul_f16_e32 v108, 0x39e9, v61
	v_add_f16_e32 v9, v13, v9
	v_fmamk_f16 v13, v39, 0xbacd, v111
	v_add_f16_e32 v12, v12, v45
	v_mul_f16_e32 v126, 0x3bf7, v84
	v_mul_f16_e32 v110, 0x3722, v63
	v_mul_f16_e64 v128, 0xb5c8, v86
	v_add_f16_e32 v9, v13, v9
	v_fmamk_f16 v13, v40, 0xb8d2, v113
	v_add_f16_e32 v12, v87, v12
	v_fmamk_f16 v87, v20, 0xb964, v108
	v_mul_f16_e32 v112, 0xbbdd, v64
	v_mul_f16_e64 v130, 0xba62, v85
	v_add_f16_e32 v9, v13, v9
	v_fmamk_f16 v13, v41, 0x39e9, v115
	v_add_f16_e32 v12, v87, v12
	v_fmamk_f16 v87, v21, 0x3b29, v110
	;; [unrolled: 6-line block ×7, first 2 shown]
	v_fmamk_f16 v124, v24, 0xbbb2, v122
	v_mul_f16_e32 v125, 0x3b76, v61
	v_add_f16_e32 v13, v96, v13
	v_fma_f16 v96, 0x3b76, v40, v128
	v_add_f16_e32 v87, v87, v45
	v_mul_f16_e64 v143, 0xb1e1, v86
	v_mul_f16_e32 v127, 0xbacd, v63
	v_mul_f16_e64 v145, 0x3b29, v85
	v_add_f16_e32 v13, v96, v13
	v_fma_f16 v96, 0xb8d2, v41, v130
	v_add_f16_e32 v87, v124, v87
	v_fmamk_f16 v124, v20, 0x35c8, v125
	v_mul_f16_e64 v129, 0x2de8, v64
	v_mul_f16_e32 v80, 0x3b29, v80
	v_add_f16_e32 v13, v96, v13
	v_fma_f16 v96, 0xb461, v59, v132
	v_add_f16_e32 v87, v124, v87
	v_fmamk_f16 v124, v21, 0x3836, v127
	v_mul_f16_e64 v131, 0x39e9, v65
	v_mul_f16_e32 v81, 0xbbf7, v81
	v_add_f16_e32 v96, v96, v98
	v_fma_f16 v98, 0x3b76, v22, v134
	v_add_f16_e32 v87, v124, v87
	v_fma_f16 v124, 0xbbf7, v25, v129
	v_mul_f16_e64 v133, 0xbbdd, v66
	v_mul_f16_e32 v83, 0x3a62, v83
	v_add_f16_e32 v96, v98, v96
	v_fma_f16 v98, 0xbacd, v26, v136
	v_add_f16_e32 v87, v124, v87
	v_fma_f16 v124, 0x3964, v27, v131
	;; [unrolled: 6-line block ×5, first 2 shown]
	v_fmac_f16_e64 v137, 0xb836, v14
	v_fma_f16 v141, 0xbb29, v24, v139
	v_add_f16_e32 v96, v98, v96
	v_fma_f16 v98, 0x3722, v41, v145
	v_add_f16_e32 v124, v124, v45
	v_mul_f16_e64 v142, 0x2de8, v61
	v_add_f16_e64 v137, v137, v45
	v_fmac_f16_e64 v139, 0x3b29, v24
	v_add_f16_e32 v96, v98, v96
	v_fmamk_f16 v98, v59, 0x3722, v80
	v_fma_f16 v80, v59, 0x3722, -v80
	v_add_f16_e64 v124, v141, v124
	v_fma_f16 v141, 0x3bf7, v20, v142
	v_mul_f16_e64 v144, 0xb8d2, v63
	v_add_f16_e32 v98, v98, v99
	v_fmamk_f16 v99, v22, 0x2de8, v81
	v_add_f16_e32 v80, v80, v101
	v_fma_f16 v81, v22, 0x2de8, -v81
	v_add_f16_e64 v137, v139, v137
	v_fmac_f16_e64 v142, 0xbbf7, v20
	v_add_f16_e32 v98, v99, v98
	v_fmamk_f16 v99, v26, 0xb8d2, v83
	v_add_f16_e32 v80, v81, v80
	v_fma_f16 v81, v26, 0xb8d2, -v83
	v_add_f16_e64 v124, v141, v124
	v_fma_f16 v141, 0xba62, v21, v144
	v_add_f16_e32 v98, v99, v98
	v_fmamk_f16 v99, v36, 0x3b76, v82
	v_add_f16_e32 v80, v81, v80
	v_fma_f16 v81, v36, 0x3b76, -v82
	v_mul_f16_e64 v146, 0x3b76, v64
	v_add_f16_e64 v137, v142, v137
	v_add_f16_e32 v98, v99, v98
	v_fmamk_f16 v99, v39, 0xbbdd, v84
	v_add_f16_e32 v80, v81, v80
	v_fma_f16 v81, v39, 0xbbdd, -v84
	v_fma_f16 v84, v59, 0xb461, -v132
	v_fmac_f16_e64 v144, 0x3a62, v21
	v_add_f16_e32 v98, v99, v98
	v_fmamk_f16 v99, v40, 0x39e9, v86
	v_add_f16_e32 v80, v81, v80
	v_fma_f16 v81, v40, 0x39e9, -v86
	v_add_f16_e32 v84, v84, v102
	v_fma_f16 v86, v22, 0x3b76, -v134
	v_add_f16_e64 v124, v141, v124
	v_fma_f16 v141, 0x35c8, v25, v146
	v_add_f16_e32 v80, v81, v80
	v_mul_f16_e64 v147, 0xbbdd, v65
	v_add_f16_e32 v81, v86, v84
	v_fma_f16 v84, v26, 0xbacd, -v136
	v_add_f16_e64 v137, v144, v137
	v_fmac_f16_e64 v146, 0xb5c8, v25
	v_add_f16_e64 v124, v141, v124
	v_fma_f16 v141, 0x31e1, v27, v147
	v_add_f16_e32 v81, v84, v81
	v_fma_f16 v84, v36, 0x2de8, -v138
	v_add_f16_e32 v98, v99, v98
	v_mul_f16_e32 v85, 0xbbb2, v85
	v_add_f16_e64 v99, v146, v137
	v_fmac_f16_e64 v147, 0xb1e1, v27
	v_add_f16_e32 v81, v84, v81
	v_fma_f16 v84, v39, 0x39e9, -v140
	v_fmac_f16_e32 v120, 0xba62, v14
	v_fmamk_f16 v101, v41, 0xb461, v85
	v_add_f16_e64 v83, v147, v99
	v_fmac_f16_e32 v122, 0x3bb2, v24
	v_add_f16_e32 v81, v84, v81
	v_fma_f16 v84, v40, 0xbbdd, -v143
	v_add_f16_e32 v99, v120, v45
	v_add_f16_e32 v82, v101, v98
	v_fmac_f16_e32 v125, 0xb5c8, v20
	v_fmac_f16_e32 v100, 0xbbf7, v14
	v_add_f16_e32 v81, v84, v81
	v_fma_f16 v84, v59, 0xbacd, -v117
	v_add_f16_e32 v98, v122, v99
	v_fma_f16 v99, v22, 0x39e9, -v119
	v_fmac_f16_e32 v79, 0xbb29, v14
	v_fmac_f16_e32 v127, 0xb836, v21
	v_add_f16_e32 v84, v84, v103
	v_add_f16_e32 v98, v125, v98
	;; [unrolled: 1-line block ×3, first 2 shown]
	v_fmac_f16_e32 v93, 0xb1e1, v24
	v_fma_f16 v91, v59, 0xbbdd, -v91
	v_add_f16_e32 v84, v99, v84
	v_fma_f16 v99, v26, 0x3722, -v121
	v_add_f16_e32 v79, v79, v45
	v_fmac_f16_e32 v78, 0xba62, v24
	v_mul_f16_e32 v60, 0x3b76, v60
	v_add_f16_e32 v98, v127, v98
	v_fmac_f16_e64 v129, 0x3bf7, v25
	v_fmac_f16_e32 v104, 0xbbb2, v14
	v_add_f16_e32 v93, v93, v100
	v_fmac_f16_e32 v92, 0x3bb2, v20
	v_add_f16_e32 v84, v99, v84
	v_fma_f16 v99, v36, 0xbbdd, -v123
	v_add_f16_e32 v90, v91, v90
	v_fma_f16 v91, v22, 0xb461, -v106
	v_add_f16_e32 v78, v78, v79
	v_mul_f16_e32 v79, 0x39e9, v19
	v_fmac_f16_e32 v76, 0x31e1, v20
	v_add_f16_e32 v53, v53, v60
	v_add_f16_e64 v86, v129, v98
	v_add_f16_e32 v98, v104, v45
	v_add_f16_e32 v92, v92, v93
	v_fmac_f16_e32 v105, 0x35c8, v21
	v_add_f16_e32 v84, v99, v84
	v_fma_f16 v93, v39, 0x2de8, -v126
	v_add_f16_e32 v90, v91, v90
	v_fma_f16 v91, v26, 0x3b76, -v95
	v_mul_f16_e32 v61, 0x3722, v61
	v_add_f16_e32 v76, v76, v78
	v_fmac_f16_e32 v74, 0x3bb2, v21
	v_add_f16_e32 v45, v53, v45
	v_add_f16_e32 v50, v50, v79
	;; [unrolled: 1-line block ×3, first 2 shown]
	v_fmac_f16_e32 v97, 0xbb29, v25
	v_add_f16_e32 v84, v93, v84
	v_fma_f16 v93, v40, 0x3b76, -v128
	v_add_f16_e32 v90, v91, v90
	v_fma_f16 v91, v36, 0x3722, -v109
	v_mul_f16_e32 v63, 0x2de8, v63
	v_add_f16_e32 v74, v74, v76
	v_fmac_f16_e32 v75, 0x3964, v25
	v_add_f16_e32 v45, v50, v45
	v_add_f16_e32 v51, v51, v61
	;; [unrolled: 1-line block ×3, first 2 shown]
	v_fmac_f16_e32 v94, 0xb836, v27
	v_mul_f16_e32 v97, 0xb8d2, v66
	v_add_f16_e32 v84, v93, v84
	v_fma_f16 v95, v41, 0xb8d2, -v130
	v_add_f16_e32 v90, v91, v90
	v_fma_f16 v91, v39, 0xbacd, -v111
	v_mul_f16_e32 v64, 0xb461, v64
	v_add_f16_e32 v74, v75, v74
	v_fmac_f16_e32 v77, 0xb5c8, v27
	v_add_f16_e32 v45, v51, v45
	v_add_f16_e32 v55, v55, v63
	;; [unrolled: 1-line block ×3, first 2 shown]
	v_fmamk_f16 v93, v38, 0xba62, v97
	v_fmac_f16_e32 v97, 0x3a62, v38
	v_mul_f16_e32 v94, 0x39e9, v62
	v_add_f16_e32 v84, v95, v84
	v_add_f16_e32 v90, v91, v90
	v_fma_f16 v91, v40, 0xb8d2, -v113
	v_mul_f16_e32 v95, 0x39e9, v59
	v_mul_f16_e32 v65, 0xb8d2, v65
	v_fma_f16 v59, v59, 0x2de8, -v73
	v_pk_mul_f16 v75, 0x39e93722, v23
	v_add_f16_e32 v74, v77, v74
	v_fmac_f16_e32 v15, 0xbbf7, v38
	v_add_f16_e32 v45, v55, v45
	v_add_f16_e32 v57, v57, v64
	v_add_f16_e32 v92, v97, v92
	v_fmamk_f16 v97, v37, 0x3964, v94
	v_add_f16_e32 v90, v91, v90
	v_mul_f16_e32 v91, 0x3722, v22
	v_add_f16_e32 v59, v59, v89
	v_pk_mul_f16 v89, 0xba62bbf7, v24
	v_fma_f16 v72, v22, 0xb8d2, -v72
	v_pk_fma_f16 v77, 0xbb29b964, v14, v75 op_sel:[0,0,1] op_sel_hi:[1,1,0] neg_lo:[0,1,0] neg_hi:[0,1,0]
	v_add_f16_e32 v15, v15, v74
	v_pk_fma_f16 v75, 0xbb29b964, v14, v75 op_sel:[0,0,1] op_sel_hi:[1,1,0]
	v_add_f16_e32 v45, v57, v45
	v_sub_f16_e32 v43, v95, v43
	v_fmac_f16_e32 v17, 0xb836, v37
	v_add_f16_e32 v58, v58, v65
	v_add_f16_e32 v92, v97, v92
	v_fma_f16 v97, v41, 0x39e9, -v115
	v_mul_f16_e32 v78, 0x2de8, v26
	v_pk_mul_f16 v60, 0xb8d2bbdd, v22
	v_add_f16_e32 v59, v72, v59
	v_pk_fma_f16 v72, 0xb8d22de8, v19, v89 neg_lo:[0,0,1] neg_hi:[0,0,1]
	v_fma_f16 v71, v26, 0xbbdd, -v71
	v_pk_fma_f16 v89, 0xb8d22de8, v19, v89
	v_add_f16_e32 v15, v17, v15
	v_add_f16_e32 v16, v43, v16
	v_sub_f16_e32 v17, v91, v42
	v_add_f16_e32 v43, v58, v45
	v_pk_add_f16 v6, v6, v88
	v_bfi_b32 v45, 0xffff, v75, v77
	v_add_f16_e32 v90, v97, v90
	v_mul_f16_e32 v97, 0xb461, v36
	v_pk_fma_f16 v53, 0x31e1ba62, v20, v60 op_sel:[0,0,1] op_sel_hi:[1,1,0] neg_lo:[0,1,0] neg_hi:[0,1,0]
	v_pk_mul_f16 v79, 0xbbddb461, v26
	v_add_f16_e32 v59, v71, v59
	v_fma_f16 v70, v36, 0xbacd, -v70
	v_pk_fma_f16 v60, 0x31e1ba62, v20, v60 op_sel:[0,0,1] op_sel_hi:[1,1,0]
	v_add_f16_e32 v16, v17, v16
	v_sub_f16_e32 v17, v78, v44
	v_pk_add_f16 v6, v7, v6
	v_pk_add_f16 v7, v45, v52
	v_bfi_b32 v45, 0xffff, v89, v72
	v_mul_f16_e64 v148, 0x39e9, v66
	v_mul_f16_e32 v76, 0xb8d2, v39
	v_pk_mul_f16 v71, 0xbacd39e9, v36
	v_pk_fma_f16 v50, 0x3bb2b1e1, v21, v79 op_sel:[0,0,1] op_sel_hi:[1,1,0] neg_lo:[0,1,0] neg_hi:[0,1,0]
	v_add_f16_e32 v59, v70, v59
	v_fma_f16 v69, v39, 0xb461, -v69
	v_pk_fma_f16 v79, 0x3bb2b1e1, v21, v79 op_sel:[0,0,1] op_sel_hi:[1,1,0]
	v_add_f16_e32 v16, v17, v16
	v_sub_f16_e32 v17, v97, v46
	v_pk_add_f16 v4, v4, v6
	v_pk_add_f16 v6, v45, v7
	v_bfi_b32 v7, 0xffff, v60, v53
	v_add_f16_e64 v124, v141, v124
	v_fma_f16 v141, 0xb964, v38, v148
	v_mul_f16_e32 v73, 0xbacd, v40
	v_mul_f16_e32 v66, 0xbacd, v66
	v_pk_fma_f16 v61, 0x39643836, v25, v71 op_sel:[0,0,1] op_sel_hi:[1,1,0] neg_lo:[0,1,0] neg_hi:[0,1,0]
	v_pk_mul_f16 v70, 0xb4613b76, v39
	v_add_f16_e32 v59, v69, v59
	v_fma_f16 v68, v40, 0x3722, -v68
	v_pk_fma_f16 v71, 0x39643836, v25, v71 op_sel:[0,0,1] op_sel_hi:[1,1,0]
	v_add_f16_e32 v16, v17, v16
	v_sub_f16_e32 v17, v76, v47
	v_pk_add_f16 v4, v5, v4
	v_pk_add_f16 v5, v7, v6
	v_bfi_b32 v6, 0xffff, v79, v50
	v_add_f16_e64 v124, v141, v124
	v_mul_f16_e64 v141, 0xb461, v62
	v_pk_mul_f16 v63, 0x37222de8, v40
	v_pk_fma_f16 v69, 0xb5c83bb2, v27, v70 op_sel:[0,0,1] op_sel_hi:[1,1,0] neg_lo:[0,1,0] neg_hi:[0,1,0]
	v_add_f16_e32 v59, v68, v59
	v_mul_f16_e32 v68, 0xbbdd, v41
	v_pk_fma_f16 v70, 0xb5c83bb2, v27, v70 op_sel:[0,0,1] op_sel_hi:[1,1,0]
	v_mul_f16_e32 v62, 0xbbdd, v62
	v_add_f16_e32 v44, v56, v66
	v_add_f16_e32 v7, v17, v16
	v_sub_f16_e32 v16, v73, v48
	v_pk_add_f16 v2, v2, v4
	v_pk_add_f16 v4, v6, v5
	v_bfi_b32 v5, 0xffff, v71, v61
	v_pk_fma_f16 v55, 0xbbf73b29, v38, v63 op_sel:[0,0,1] op_sel_hi:[1,1,0] neg_lo:[0,1,0] neg_hi:[0,1,0]
	v_pk_fma_f16 v63, 0xbbf73b29, v38, v63 op_sel:[0,0,1] op_sel_hi:[1,1,0]
	v_add_f16_e32 v43, v44, v43
	v_add_f16_e32 v44, v54, v62
	;; [unrolled: 1-line block ×3, first 2 shown]
	v_sub_f16_e32 v7, v68, v49
	v_pk_add_f16 v2, v3, v2
	v_pk_add_f16 v3, v5, v4
	v_bfi_b32 v4, 0xffff, v70, v69
	v_pk_mul_f16 v64, 0x3b76bacd, v41
	v_add_f16_e32 v17, v44, v43
	v_and_b32_e32 v16, 0xffff, v0
	v_add_f16_e32 v5, v7, v6
	v_pk_mul_f16 v7, 0xbbdd, v23 op_sel_hi:[0,1]
	v_pk_add_f16 v3, v4, v3
	v_bfi_b32 v4, 0xffff, v63, v55
	v_fmac_f16_e64 v131, 0xb964, v27
	v_pk_add_f16 v51, v75, v52
	v_pk_fma_f16 v57, 0xb83635c8, v37, v64 op_sel:[0,0,1] op_sel_hi:[1,1,0] neg_lo:[0,1,0] neg_hi:[0,1,0]
	v_lshlrev_b32_e32 v6, 2, v16
	v_pk_add_f16 v2, v18, v2
	v_pack_b32_f16 v5, v5, v17
	v_pk_fma_f16 v16, 0xb83635c8, v37, v64 op_sel:[0,0,1] op_sel_hi:[1,1,0]
	v_pk_fma_f16 v17, 0xb1e1, v14, v7 op_sel:[0,0,1] op_sel_hi:[0,1,0] neg_lo:[0,1,0] neg_hi:[0,1,0]
	v_pk_mul_f16 v18, 0x35c8, v24 op_sel_hi:[0,1]
	v_pk_add_f16 v3, v4, v3
	v_pk_fma_f16 v4, 0xb1e1, v14, v7 op_sel:[0,0,1] op_sel_hi:[0,1,0]
	v_add_f16_e64 v86, v131, v86
	v_fmac_f16_e64 v133, 0xb1e1, v38
	v_fmac_f16_e32 v107, 0x3836, v24
	v_pk_add_f16 v51, v89, v51
	v_bfi_b32 v7, 0xffff, v16, v57
	v_pk_add_f16 v14, v17, v52
	v_pk_fma_f16 v16, 0x3b76, v19, v18 op_sel_hi:[0,1,1] neg_lo:[0,0,1] neg_hi:[0,0,1]
	v_pk_mul_f16 v17, 0xbacd, v22 op_sel_hi:[0,1]
	v_pk_add_f16 v4, v4, v52
	v_pk_fma_f16 v18, 0x3b76, v19, v18 op_sel_hi:[0,1,1]
	v_fma_f16 v85, v41, 0xb461, -v85
	v_add_f16_e64 v86, v133, v86
	v_fmac_f16_e64 v135, 0x3b29, v37
	v_add_f16_e32 v98, v107, v98
	v_fmac_f16_e32 v108, 0x3964, v20
	v_pk_add_f16 v51, v60, v51
	v_pk_add_f16 v3, v7, v3
	;; [unrolled: 1-line block ×3, first 2 shown]
	v_pk_fma_f16 v14, 0xb836, v20, v17 op_sel:[0,0,1] op_sel_hi:[0,1,0] neg_lo:[0,1,0] neg_hi:[0,1,0]
	v_pk_mul_f16 v16, 0x39e9, v26 op_sel_hi:[0,1]
	v_pk_add_f16 v4, v18, v4
	v_pk_fma_f16 v17, 0xb836, v20, v17 op_sel:[0,0,1] op_sel_hi:[0,1,0]
	v_add_f16_e32 v74, v77, v52
	v_add_f16_e32 v80, v85, v80
	v_add_f16_e64 v85, v135, v86
	v_add_f16_e32 v86, v108, v98
	v_fmac_f16_e32 v110, 0xbb29, v21
	v_pk_add_f16 v51, v79, v51
	v_pk_add_f16 v7, v14, v7
	v_pk_fma_f16 v14, 0x3964, v21, v16 op_sel:[0,0,1] op_sel_hi:[0,1,0] neg_lo:[0,1,0] neg_hi:[0,1,0]
	v_pk_mul_f16 v18, 0xb8d2, v36 op_sel_hi:[0,1]
	v_pk_add_f16 v4, v17, v4
	v_pk_fma_f16 v16, 0x3964, v21, v16 op_sel:[0,0,1] op_sel_hi:[0,1,0]
	v_add_f16_e32 v74, v72, v74
	v_add_f16_e32 v86, v110, v86
	v_fmac_f16_e32 v112, 0xb1e1, v25
	v_pk_add_f16 v51, v71, v51
	v_pk_add_f16 v7, v14, v7
	v_pk_fma_f16 v14, 0xba62, v25, v18 op_sel:[0,0,1] op_sel_hi:[0,1,0] neg_lo:[0,1,0] neg_hi:[0,1,0]
	v_pk_mul_f16 v17, 0x3722, v39 op_sel_hi:[0,1]
	v_pk_add_f16 v4, v16, v4
	v_pk_fma_f16 v16, 0xba62, v25, v18 op_sel:[0,0,1] op_sel_hi:[0,1,0]
	v_add_f16_e32 v74, v53, v74
	v_add_f16_e32 v86, v112, v86
	v_fmac_f16_e32 v114, 0x3bf7, v27
	v_pk_add_f16 v51, v70, v51
	v_mul_f16_e32 v65, 0x3964, v37
	v_pk_add_f16 v7, v14, v7
	v_pk_fma_f16 v14, 0x3b29, v27, v17 op_sel:[0,0,1] op_sel_hi:[0,1,0] neg_lo:[0,1,0] neg_hi:[0,1,0]
	v_pk_mul_f16 v19, 0xb461, v40 op_sel_hi:[0,1]
	v_pk_add_f16 v4, v16, v4
	v_pk_fma_f16 v16, 0x3b29, v27, v17 op_sel:[0,0,1] op_sel_hi:[0,1,0]
	v_add_f16_e32 v74, v50, v74
	v_add_f16_e32 v86, v114, v86
	v_fmac_f16_e32 v116, 0xb5c8, v38
	v_fmac_f16_e64 v148, 0x3964, v38
	v_pk_mul_f16 v95, 0xb83635c8, v37
	v_pk_add_f16 v7, v14, v7
	v_pk_fma_f16 v14, 0xbbb2, v38, v19 op_sel:[0,0,1] op_sel_hi:[0,1,0] neg_lo:[0,1,0] neg_hi:[0,1,0]
	v_pk_mul_f16 v20, 0x2de8, v41 op_sel_hi:[0,1]
	v_pk_add_f16 v4, v16, v4
	v_pk_fma_f16 v16, 0xbbb2, v38, v19 op_sel:[0,0,1] op_sel_hi:[0,1,0]
	v_bfi_b32 v21, 0xffff, v65, v51
	v_add_f16_e32 v74, v61, v74
	v_fma_f16 v67, v41, 0x3b76, -v67
	v_add_f16_e32 v86, v116, v86
	v_fmac_f16_e32 v118, 0xba62, v37
	v_fma_f16 v139, 0x3bb2, v37, v141
	v_add_f16_e64 v83, v148, v83
	v_fmac_f16_e64 v141, 0xbbb2, v37
	v_fma_f16 v98, v41, 0x3722, -v145
	v_pk_add_f16 v7, v14, v7
	v_pk_fma_f16 v14, 0x3bf7, v37, v20 op_sel:[0,0,1] op_sel_hi:[0,1,0] neg_lo:[0,1,0] neg_hi:[0,1,0]
	v_pk_add_f16 v4, v16, v4
	v_pk_fma_f16 v16, 0x3bf7, v37, v20 op_sel:[0,0,1] op_sel_hi:[0,1,0]
	v_pack_b32_f16 v20, v93, v64
	v_bfi_b32 v8, 0xffff, v8, v95
	v_pk_add_f16 v21, v94, v21 neg_lo:[0,1] neg_hi:[0,1]
	v_pk_add_f16 v22, v63, v51
	v_add_f16_e32 v74, v69, v74
	v_add_f16_e32 v42, v67, v59
	;; [unrolled: 1-line block ×3, first 2 shown]
	v_add_f16_e64 v83, v141, v83
	v_add_f16_e32 v81, v98, v81
	v_pk_add_f16 v7, v14, v7
	v_pk_add_f16 v8, v20, v8
	v_bfi_b32 v14, 0xffff, v21, v22
	v_add_f16_e32 v74, v55, v74
	v_alignbit_b32 v15, v15, v3, 16
	v_pack_b32_f16 v3, v42, v3
	v_pack_b32_f16 v18, v84, v86
	;; [unrolled: 1-line block ×3, first 2 shown]
	v_pk_add_f16 v4, v16, v4
	v_add_f16_e64 v124, v139, v124
	v_pack_b32_f16 v19, v80, v83
	v_pack_b32_f16 v23, v81, v85
	ds_store_2addr_b32 v6, v2, v5 offset1:1
	ds_store_2addr_b32 v6, v3, v15 offset0:2 offset1:3
	ds_store_2addr_b32 v6, v17, v18 offset0:4 offset1:5
	;; [unrolled: 1-line block ×3, first 2 shown]
	v_pk_add_f16 v3, v14, v8
	v_add_f16_e32 v74, v57, v74
	v_alignbit_b32 v2, v7, v4, 16
	v_alignbit_b32 v4, v4, v7, 16
	v_pack_b32_f16 v5, v96, v87
	v_pack_b32_f16 v7, v82, v124
	;; [unrolled: 1-line block ×3, first 2 shown]
	v_alignbit_b32 v10, v10, v3, 16
	v_pack_b32_f16 v3, v9, v3
	v_pack_b32_f16 v9, v11, v74
	v_perm_b32 v11, v29, v28, 0x5040100
	ds_store_2addr_b32 v6, v4, v2 offset0:8 offset1:9
	ds_store_2addr_b32 v6, v7, v5 offset0:10 offset1:11
	ds_store_b32 v6, v8 offset:48
	ds_store_2addr_b32 v6, v3, v10 offset0:13 offset1:14
	ds_store_2addr_b32 v6, v9, v11 offset0:15 offset1:16
.LBB0_7:
	s_wait_alu 0xfffe
	s_or_b32 exec_lo, exec_lo, s0
	v_add_nc_u16 v2, v34, 51
	v_add_nc_u16 v3, v34, 0x66
	v_and_b32_e32 v4, 0xff, v34
	v_add_nc_u16 v69, v34, 0xcc
	v_add_nc_u16 v70, v34, 0xff
	v_and_b32_e32 v5, 0xff, v2
	v_and_b32_e32 v7, 0xff, v3
	v_mul_lo_u16 v4, 0xf1, v4
	v_add_nc_u16 v71, v34, 0x132
	v_add_nc_u16 v72, v34, 0x165
	v_mul_lo_u16 v6, 0xf1, v5
	v_mul_lo_u16 v5, 0xf1, v7
	v_lshrrev_b16 v26, 12, v4
	v_add_nc_u16 v4, v34, 0x99
	v_and_b32_e32 v80, 0xff, v69
	v_lshrrev_b16 v27, 12, v6
	v_lshrrev_b16 v45, 12, v5
	v_mul_lo_u16 v7, v26, 17
	v_and_b32_e32 v79, 0xffff, v70
	v_and_b32_e32 v78, 0xffff, v71
	v_mul_lo_u16 v8, v27, 17
	v_mul_lo_u16 v9, v45, 17
	v_sub_nc_u16 v46, v34, v7
	v_and_b32_e32 v77, 0xffff, v72
	v_mul_u32_u24_e32 v13, 0xf0f1, v78
	v_sub_nc_u16 v7, v2, v8
	v_sub_nc_u16 v8, v3, v9
	v_and_b32_e32 v9, 0xff, v4
	v_mul_u32_u24_e32 v14, 0xf0f1, v77
	v_lshrrev_b32_e32 v52, 20, v13
	v_and_b32_e32 v47, 0xff, v7
	v_and_b32_e32 v48, 0xff, v8
	v_mul_lo_u16 v9, 0xf1, v9
	v_mul_lo_u16 v8, 0xf1, v80
	v_mul_u32_u24_e32 v7, 0xf0f1, v79
	v_lshrrev_b32_e32 v53, 20, v14
	v_and_b32_e32 v10, 0xff, v46
	v_lshrrev_b16 v49, 12, v9
	v_lshrrev_b16 v50, 12, v8
	v_lshrrev_b32_e32 v51, 20, v7
	v_mul_lo_u16 v16, v52, 17
	v_mul_lo_u16 v17, v53, 17
	;; [unrolled: 1-line block ×5, first 2 shown]
	v_lshlrev_b32_e32 v10, 2, v10
	v_sub_nc_u16 v55, v71, v16
	v_sub_nc_u16 v13, v4, v13
	;; [unrolled: 1-line block ×5, first 2 shown]
	s_load_b128 s[4:7], s[4:5], 0x0
	global_wb scope:SCOPE_SE
	s_wait_dscnt 0x0
	s_wait_kmcnt 0x0
	s_barrier_signal -1
	s_barrier_wait -1
	global_inv scope:SCOPE_SE
	global_load_b32 v44, v10, s[2:3]
	v_and_b32_e32 v56, 0xff, v13
	v_and_b32_e32 v58, 0xff, v14
	;; [unrolled: 1-line block ×3, first 2 shown]
	v_lshlrev_b32_e32 v11, 2, v47
	v_and_b32_e32 v14, 0xffff, v55
	v_and_b32_e32 v10, 0xffff, v57
	v_lshlrev_b32_e32 v12, 2, v48
	v_lshlrev_b32_e32 v15, 2, v56
	;; [unrolled: 1-line block ×6, first 2 shown]
	s_clause 0x6
	global_load_b32 v43, v11, s[2:3]
	global_load_b32 v42, v12, s[2:3]
	;; [unrolled: 1-line block ×7, first 2 shown]
	v_and_b32_e32 v10, 0xffff, v34
	v_mul_lo_u16 v27, v27, 34
	v_and_b32_e32 v49, 0xffff, v49
	v_mad_u16 v26, v26, 34, v46
	v_mad_u16 v54, v51, 34, v54
	v_lshlrev_b32_e32 v36, 2, v10
	v_and_b32_e32 v27, 0xfe, v27
	v_mul_u32_u24_e32 v46, 34, v49
	v_and_b32_e32 v26, 0xff, v26
	v_mad_u16 v55, v52, 34, v55
	v_add_nc_u32_e32 v62, 0x400, v36
	v_add_nc_u32_e32 v18, 0x600, v36
	;; [unrolled: 1-line block ×3, first 2 shown]
	ds_load_2addr_b32 v[10:11], v36 offset1:51
	ds_load_2addr_b32 v[12:13], v36 offset0:102 offset1:153
	ds_load_2addr_b32 v[14:15], v36 offset0:204 offset1:255
	;; [unrolled: 1-line block ×7, first 2 shown]
	v_and_b32_e32 v50, 0xffff, v50
	v_lshlrev_b32_e32 v231, 2, v26
	v_add_lshl_u32 v232, v27, v47, 2
	v_add_lshl_u32 v60, v46, v56, 2
	v_and_b32_e32 v26, 0xffff, v54
	v_and_b32_e32 v27, 0xffff, v55
	v_mul_u32_u24_e32 v49, 34, v50
	v_and_b32_e32 v45, 0xffff, v45
	v_mad_u16 v53, v53, 34, v57
	v_lshlrev_b32_e32 v228, 2, v26
	v_lshlrev_b32_e32 v229, 2, v27
	v_add_lshl_u32 v61, v49, v58, 2
	v_mul_u32_u24_e32 v45, 34, v45
	v_and_b32_e32 v49, 0xffff, v53
	global_wb scope:SCOPE_SE
	s_wait_loadcnt_dscnt 0x0
	v_lshrrev_b32_e32 v73, 16, v16
	v_lshrrev_b32_e32 v74, 16, v17
	;; [unrolled: 1-line block ×16, first 2 shown]
	s_barrier_signal -1
	s_barrier_wait -1
	global_inv scope:SCOPE_SE
	v_add_nc_u32_e32 v64, 0x200, v36
	v_add_lshl_u32 v233, v45, v48, 2
	v_lshlrev_b32_e32 v230, 2, v49
	v_cmp_gt_u16_e64 s0, 17, v34
	v_lshrrev_b32_e32 v56, 16, v44
	s_delay_alu instid0(VALU_DEP_1)
	v_mul_f16_e32 v26, v73, v56
	v_mul_f16_e32 v27, v16, v56
	v_lshrrev_b32_e32 v239, 16, v43
	v_lshrrev_b32_e32 v59, 16, v42
	;; [unrolled: 1-line block ×7, first 2 shown]
	v_fma_f16 v16, v16, v44, -v26
	v_fmac_f16_e32 v27, v73, v44
	v_mul_f16_e64 v26, v74, v239
	v_mul_f16_e64 v58, v17, v239
	v_mul_f16_e32 v73, v81, v59
	v_mul_f16_e32 v89, v18, v59
	v_mul_f16_e64 v90, v82, v238
	v_mul_f16_e64 v91, v19, v238
	;; [unrolled: 1-line block ×10, first 2 shown]
	v_fma_f16 v17, v17, v43, -v26
	v_fmac_f16_e32 v58, v74, v43
	v_sub_f16_e32 v16, v10, v16
	v_sub_f16_e32 v26, v65, v27
	v_fma_f16 v18, v18, v42, -v73
	v_fmac_f16_e32 v89, v81, v42
	v_fma_f16 v19, v19, v41, -v90
	v_fmac_f16_e32 v91, v82, v41
	;; [unrolled: 2-line block ×6, first 2 shown]
	v_fma_f16 v10, v10, 2.0, -v16
	v_fma_f16 v27, v65, 2.0, -v26
	v_sub_f16_e32 v17, v11, v17
	v_sub_f16_e32 v58, v66, v58
	v_sub_f16_e32 v18, v12, v18
	v_sub_f16_e32 v65, v67, v89
	v_sub_f16_e32 v19, v13, v19
	v_sub_f16_e32 v81, v68, v91
	v_sub_f16_e32 v20, v14, v20
	v_sub_f16_e32 v82, v75, v93
	v_sub_f16_e32 v21, v15, v21
	v_sub_f16_e32 v83, v76, v95
	v_sub_f16_e32 v24, v22, v24
	v_sub_f16_e32 v84, v85, v97
	v_sub_f16_e32 v73, v23, v25
	v_sub_f16_e32 v74, v87, v99
	v_pack_b32_f16 v16, v16, v26
	v_fma_f16 v11, v11, 2.0, -v17
	v_fma_f16 v25, v66, 2.0, -v58
	v_pack_b32_f16 v10, v10, v27
	v_fma_f16 v12, v12, 2.0, -v18
	v_fma_f16 v26, v67, 2.0, -v65
	;; [unrolled: 1-line block ×12, first 2 shown]
	v_pack_b32_f16 v17, v17, v58
	ds_store_2addr_b32 v231, v10, v16 offset1:17
	v_pack_b32_f16 v10, v11, v25
	v_pack_b32_f16 v18, v18, v65
	v_pack_b32_f16 v11, v12, v26
	v_pack_b32_f16 v19, v19, v81
	v_pack_b32_f16 v12, v13, v66
	v_pack_b32_f16 v20, v20, v82
	v_pack_b32_f16 v13, v14, v67
	v_pack_b32_f16 v21, v21, v83
	v_pack_b32_f16 v24, v24, v84
	v_pack_b32_f16 v27, v73, v74
	v_pack_b32_f16 v14, v15, v68
	v_pack_b32_f16 v15, v22, v75
	v_pack_b32_f16 v16, v23, v76
	ds_store_2addr_b32 v232, v10, v17 offset1:17
	ds_store_2addr_b32 v233, v11, v18 offset1:17
	ds_store_2addr_b32 v60, v12, v19 offset1:17
	ds_store_2addr_b32 v61, v13, v20 offset1:17
	ds_store_2addr_b32 v228, v14, v21 offset1:17
	ds_store_2addr_b32 v229, v15, v24 offset1:17
	ds_store_2addr_b32 v230, v16, v27 offset1:17
	global_wb scope:SCOPE_SE
	s_wait_dscnt 0x0
	s_barrier_signal -1
	s_barrier_wait -1
	global_inv scope:SCOPE_SE
	ds_load_2addr_b32 v[16:17], v36 offset1:51
	ds_load_2addr_b32 v[14:15], v64 offset0:76 offset1:144
	ds_load_2addr_b32 v[26:27], v63 offset0:32 offset1:83
	;; [unrolled: 1-line block ×6, first 2 shown]
	ds_load_b32 v75, v36 offset:2992
                                        ; implicit-def: $vgpr76
                                        ; implicit-def: $vgpr82
	s_and_saveexec_b32 s1, s0
	s_cbranch_execz .LBB0_9
; %bb.8:
	ds_load_b32 v73, v36 offset:1020
	ds_load_b32 v28, v36 offset:2108
	;; [unrolled: 1-line block ×3, first 2 shown]
	s_wait_dscnt 0x2
	v_lshrrev_b32_e32 v74, 16, v73
	s_wait_dscnt 0x1
	v_lshrrev_b32_e32 v29, 16, v28
	;; [unrolled: 2-line block ×3, first 2 shown]
.LBB0_9:
	s_wait_alu 0xfffe
	s_or_b32 exec_lo, exec_lo, s1
	v_add_co_u32 v10, s1, 0xffffffde, v34
	v_lshrrev_b16 v58, 13, v6
	s_wait_alu 0xf1ff
	v_add_co_ci_u32_e64 v11, null, 0, -1, s1
	v_lshrrev_b16 v64, 13, v5
	v_cmp_gt_u16_e64 s1, 34, v34
	v_mul_lo_u16 v5, v58, 34
	v_lshrrev_b16 v65, 13, v9
	v_lshrrev_b16 v66, 13, v8
	v_mul_lo_u16 v6, v64, 34
	s_wait_alu 0xf1ff
	v_cndmask_b32_e64 v63, v11, 0, s1
	v_cndmask_b32_e64 v62, v10, v34, s1
	v_sub_nc_u16 v5, v2, v5
	v_mul_lo_u16 v8, v65, 34
	v_sub_nc_u16 v6, v3, v6
	v_mul_lo_u16 v9, v66, 34
	v_lshlrev_b64_e32 v[2:3], 3, v[62:63]
	v_and_b32_e32 v63, 0xff, v5
	v_sub_nc_u16 v4, v4, v8
	v_and_b32_e32 v67, 0xff, v6
	v_lshrrev_b32_e32 v6, 21, v7
	v_sub_nc_u16 v5, v69, v9
	v_add_co_u32 v2, s1, s2, v2
	s_wait_alu 0xf1ff
	v_add_co_ci_u32_e64 v3, s1, s3, v3, s1
	v_and_b32_e32 v68, 0xff, v4
	v_lshlrev_b32_e32 v4, 3, v63
	v_and_b32_e32 v81, 0xff, v5
	global_load_b64 v[12:13], v[2:3], off offset:68
	v_lshlrev_b32_e32 v5, 3, v67
	v_lshlrev_b32_e32 v7, 3, v68
	global_load_b64 v[10:11], v4, s[2:3] offset:68
	v_mul_lo_u16 v3, v6, 34
	v_lshlrev_b32_e32 v2, 3, v81
	s_clause 0x2
	global_load_b64 v[8:9], v5, s[2:3] offset:68
	global_load_b64 v[6:7], v7, s[2:3] offset:68
	;; [unrolled: 1-line block ×3, first 2 shown]
	v_sub_nc_u16 v83, v70, v3
	v_and_b32_e32 v58, 0xffff, v58
	v_and_b32_e32 v87, 0xffff, v65
	;; [unrolled: 1-line block ×4, first 2 shown]
	v_lshlrev_b16 v2, 3, v83
	s_wait_dscnt 0x6
	v_lshrrev_b32_e32 v86, 16, v15
	s_wait_dscnt 0x5
	v_lshrrev_b32_e32 v95, 16, v26
	;; [unrolled: 2-line block ×3, first 2 shown]
	v_lshrrev_b32_e32 v98, 16, v27
	v_and_b32_e32 v2, 0xffff, v2
	s_wait_dscnt 0x1
	v_lshrrev_b32_e32 v103, 16, v20
	v_lshrrev_b32_e32 v106, 16, v21
	v_mul_u32_u24_e32 v64, 0x66, v64
	v_lshrrev_b32_e32 v100, 16, v25
	v_add_co_u32 v2, s1, s2, v2
	s_wait_alu 0xf1ff
	v_add_co_ci_u32_e64 v3, null, s3, 0, s1
	v_cmp_lt_u16_e64 s1, 33, v34
	v_lshrrev_b32_e32 v101, 16, v22
	v_lshrrev_b32_e32 v104, 16, v23
	global_load_b64 v[2:3], v[2:3], off offset:68
	s_wait_dscnt 0x0
	v_lshrrev_b32_e32 v107, 16, v75
	s_wait_alu 0xf1ff
	v_cndmask_b32_e64 v84, 0, 0x66, s1
	v_and_b32_e32 v65, 0xffff, v83
	v_add_lshl_u32 v64, v64, v67, 2
	v_lshrrev_b32_e32 v96, 16, v17
	v_lshrrev_b32_e32 v99, 16, v18
	v_add_lshl_u32 v88, v62, v84, 2
	v_mul_u32_u24_e32 v62, 0x66, v58
	v_mul_u32_u24_e32 v84, 0x66, v87
	;; [unrolled: 1-line block ×3, first 2 shown]
	v_lshrrev_b32_e32 v102, 16, v19
	v_lshrrev_b32_e32 v85, 16, v16
	v_add_lshl_u32 v66, v62, v63, 2
	v_add_lshl_u32 v63, v84, v68, 2
	;; [unrolled: 1-line block ×3, first 2 shown]
	v_lshrrev_b32_e32 v105, 16, v14
	global_wb scope:SCOPE_SE
	s_wait_loadcnt 0x0
	s_barrier_signal -1
	s_barrier_wait -1
	global_inv scope:SCOPE_SE
	v_lshrrev_b32_e32 v240, 16, v12
	v_lshrrev_b32_e32 v94, 16, v13
	;; [unrolled: 1-line block ×4, first 2 shown]
	s_delay_alu instid0(VALU_DEP_4)
	v_mul_f16_e64 v83, v86, v240
	v_lshrrev_b32_e32 v91, 16, v8
	v_lshrrev_b32_e32 v90, 16, v9
	;; [unrolled: 1-line block ×6, first 2 shown]
	v_mul_f16_e64 v108, v15, v240
	v_mul_f16_e32 v109, v95, v94
	v_mul_f16_e32 v110, v26, v94
	;; [unrolled: 1-line block ×18, first 2 shown]
	v_lshrrev_b32_e32 v68, 16, v2
	v_lshrrev_b32_e32 v67, 16, v3
	v_fma_f16 v83, v15, v12, -v83
	v_fmac_f16_e32 v108, v86, v12
	v_fma_f16 v26, v26, v13, -v109
	v_fmac_f16_e32 v110, v95, v13
	;; [unrolled: 2-line block ×4, first 2 shown]
	v_fmac_f16_e32 v116, v100, v8
	v_fmac_f16_e32 v118, v101, v9
	v_fma_f16 v95, v20, v6, -v119
	v_fmac_f16_e32 v120, v103, v6
	v_fmac_f16_e32 v122, v104, v7
	v_fma_f16 v97, v21, v4, -v123
	v_mul_f16_e32 v21, v29, v68
	v_mul_f16_e32 v20, v28, v68
	;; [unrolled: 1-line block ×4, first 2 shown]
	v_fma_f16 v25, v25, v8, -v115
	v_fma_f16 v86, v22, v9, -v117
	;; [unrolled: 1-line block ×3, first 2 shown]
	v_fmac_f16_e32 v124, v106, v4
	v_fma_f16 v75, v75, v5, -v125
	v_fmac_f16_e32 v126, v107, v5
	v_add_f16_e32 v101, v83, v26
	v_add_f16_e32 v106, v108, v110
	v_fma_f16 v22, v28, v2, -v21
	v_fmac_f16_e32 v20, v29, v2
	v_fma_f16 v21, v76, v3, -v98
	v_fmac_f16_e32 v15, v82, v3
	v_add_f16_e32 v29, v24, v27
	v_sub_f16_e32 v76, v112, v114
	v_add_f16_e32 v82, v96, v112
	v_add_f16_e32 v98, v112, v114
	v_sub_f16_e32 v109, v116, v118
	v_add_f16_e32 v111, v99, v116
	;; [unrolled: 3-line block ×3, first 2 shown]
	v_add_f16_e32 v119, v120, v122
	v_add_f16_e32 v120, v14, v97
	;; [unrolled: 1-line block ×4, first 2 shown]
	v_sub_f16_e32 v103, v108, v110
	v_add_f16_e32 v108, v25, v86
	v_sub_f16_e32 v83, v83, v26
	v_add_f16_e32 v28, v17, v24
	v_add_f16_e32 v107, v18, v25
	;; [unrolled: 1-line block ×4, first 2 shown]
	v_sub_f16_e32 v123, v124, v126
	v_add_f16_e32 v125, v105, v124
	v_add_f16_e32 v124, v124, v126
	v_sub_f16_e32 v97, v97, v75
	v_fma_f16 v16, -0.5, v101, v16
	v_fmac_f16_e32 v85, -0.5, v106
	v_fmac_f16_e32 v17, -0.5, v29
	;; [unrolled: 1-line block ×3, first 2 shown]
	v_add_f16_e32 v98, v120, v75
	v_add_f16_e32 v75, v22, v21
	;; [unrolled: 1-line block ×3, first 2 shown]
	v_sub_f16_e32 v24, v24, v27
	v_add_f16_e32 v26, v100, v26
	v_add_f16_e32 v100, v104, v110
	v_sub_f16_e32 v25, v25, v86
	v_fma_f16 v18, -0.5, v108, v18
	v_fmac_f16_e32 v99, -0.5, v112
	v_add_f16_e32 v113, v19, v95
	v_sub_f16_e32 v95, v95, v23
	v_add_f16_e32 v27, v28, v27
	v_add_f16_e32 v28, v82, v114
	;; [unrolled: 1-line block ×4, first 2 shown]
	v_fmac_f16_e32 v19, -0.5, v115
	v_fmac_f16_e32 v102, -0.5, v119
	;; [unrolled: 1-line block ×4, first 2 shown]
	v_sub_f16_e32 v104, v20, v15
	v_sub_f16_e32 v107, v22, v21
	v_fmamk_f16 v108, v103, 0x3aee, v16
	v_fmac_f16_e32 v16, 0xbaee, v103
	v_fmamk_f16 v103, v83, 0xbaee, v85
	v_fmac_f16_e32 v85, 0x3aee, v83
	;; [unrolled: 2-line block ×3, first 2 shown]
	v_fma_f16 v75, -0.5, v75, v73
	v_fma_f16 v76, -0.5, v106, v74
	v_pack_b32_f16 v26, v26, v100
	v_fmamk_f16 v100, v24, 0xbaee, v96
	v_fmac_f16_e32 v96, 0x3aee, v24
	v_fmamk_f16 v24, v109, 0x3aee, v18
	v_fmac_f16_e32 v18, 0xbaee, v109
	v_fmamk_f16 v109, v25, 0xbaee, v99
	v_add_f16_e32 v23, v113, v23
	v_add_f16_e32 v86, v117, v122
	;; [unrolled: 1-line block ×3, first 2 shown]
	v_fmac_f16_e32 v99, 0x3aee, v25
	v_fmamk_f16 v25, v116, 0x3aee, v19
	v_fmac_f16_e32 v19, 0xbaee, v116
	v_fmamk_f16 v110, v95, 0xbaee, v102
	;; [unrolled: 2-line block ×4, first 2 shown]
	v_fmac_f16_e32 v105, 0x3aee, v97
	v_pack_b32_f16 v27, v27, v28
	v_pack_b32_f16 v28, v29, v82
	;; [unrolled: 1-line block ×3, first 2 shown]
	v_fmamk_f16 v121, v104, 0x3aee, v75
	v_fmac_f16_e32 v75, 0xbaee, v104
	v_fmamk_f16 v1, v107, 0xbaee, v76
	v_fmac_f16_e32 v76, 0x3aee, v107
	v_pack_b32_f16 v16, v16, v85
	v_pack_b32_f16 v83, v83, v100
	;; [unrolled: 1-line block ×11, first 2 shown]
	ds_store_2addr_b32 v88, v26, v82 offset1:34
	ds_store_b32 v88, v16 offset:272
	ds_store_2addr_b32 v66, v27, v83 offset1:34
	ds_store_b32 v66, v17 offset:272
	;; [unrolled: 2-line block ×5, first 2 shown]
	s_and_saveexec_b32 s1, s0
	s_cbranch_execz .LBB0_11
; %bb.10:
	v_add_f16_e32 v14, v74, v20
	v_add_f16_e32 v16, v73, v22
	v_lshlrev_b32_e32 v17, 2, v65
	s_delay_alu instid0(VALU_DEP_3) | instskip(NEXT) | instid1(VALU_DEP_3)
	v_add_f16_e32 v14, v14, v15
	v_add_f16_e32 v15, v16, v21
	v_perm_b32 v16, v1, v121, 0x5040100
	s_delay_alu instid0(VALU_DEP_4) | instskip(NEXT) | instid1(VALU_DEP_3)
	v_add_nc_u32_e32 v18, 0x800, v17
	v_pack_b32_f16 v14, v15, v14
	v_perm_b32 v15, v76, v75, 0x5040100
	ds_store_2addr_b32 v18, v14, v16 offset0:202 offset1:236
	ds_store_b32 v17, v15 offset:3128
.LBB0_11:
	s_wait_alu 0xfffe
	s_or_b32 exec_lo, exec_lo, s1
	v_mul_lo_u16 v14, 0xa1, v80
	v_mul_u32_u24_e32 v15, 0xa0a1, v79
	global_wb scope:SCOPE_SE
	s_wait_dscnt 0x0
	s_barrier_signal -1
	s_barrier_wait -1
	global_inv scope:SCOPE_SE
	s_clause 0x1
	global_load_b32 v74, v30, s[2:3] offset:340
	global_load_b32 v73, v30, s[2:3] offset:544
	v_mul_u32_u24_e32 v16, 0xa0a1, v78
	v_mul_u32_u24_e32 v17, 0xa0a1, v77
	v_lshrrev_b16 v14, 14, v14
	v_lshrrev_b32_e32 v15, 22, v15
	v_add_nc_u32_e32 v139, 0x400, v36
	v_lshrrev_b32_e32 v16, 22, v16
	v_lshrrev_b32_e32 v17, 22, v17
	v_mul_lo_u16 v14, 0x66, v14
	v_mul_lo_u16 v15, 0x66, v15
	v_add_nc_u32_e32 v141, 0x600, v36
	v_mul_lo_u16 v16, 0x66, v16
	v_mul_lo_u16 v17, 0x66, v17
	v_sub_nc_u16 v14, v69, v14
	v_sub_nc_u16 v15, v70, v15
	v_add_nc_u32_e32 v140, 0x800, v36
	v_sub_nc_u16 v16, v71, v16
	v_sub_nc_u16 v17, v72, v17
	v_and_b32_e32 v14, 0xff, v14
	v_and_b32_e32 v15, 0xffff, v15
	s_delay_alu instid0(VALU_DEP_4) | instskip(NEXT) | instid1(VALU_DEP_4)
	v_and_b32_e32 v16, 0xffff, v16
	v_and_b32_e32 v17, 0xffff, v17
	s_delay_alu instid0(VALU_DEP_4) | instskip(NEXT) | instid1(VALU_DEP_4)
	v_lshlrev_b32_e32 v72, 2, v14
	v_lshlrev_b32_e32 v71, 2, v15
	s_delay_alu instid0(VALU_DEP_4) | instskip(NEXT) | instid1(VALU_DEP_4)
	v_lshlrev_b32_e32 v70, 2, v16
	v_lshlrev_b32_e32 v69, 2, v17
	s_clause 0x3
	global_load_b32 v80, v72, s[2:3] offset:340
	global_load_b32 v79, v71, s[2:3] offset:340
	;; [unrolled: 1-line block ×4, first 2 shown]
	ds_load_2addr_b32 v[14:15], v36 offset1:51
	ds_load_2addr_b32 v[16:17], v36 offset0:102 offset1:153
	ds_load_2addr_b32 v[18:19], v36 offset0:204 offset1:255
	;; [unrolled: 1-line block ×7, first 2 shown]
	global_wb scope:SCOPE_SE
	s_wait_loadcnt_dscnt 0x0
	s_barrier_signal -1
	s_barrier_wait -1
	global_inv scope:SCOPE_SE
	v_add_nc_u32_e32 v113, 0x400, v72
	v_add_nc_u32_e32 v114, 0x400, v71
	;; [unrolled: 1-line block ×4, first 2 shown]
	v_lshrrev_b32_e32 v99, 16, v20
	v_lshrrev_b32_e32 v100, 16, v21
	;; [unrolled: 1-line block ×18, first 2 shown]
	s_delay_alu instid0(VALU_DEP_2) | instskip(SKIP_1) | instid1(VALU_DEP_3)
	v_mul_f16_e32 v105, v99, v96
	v_mul_f16_e32 v107, v20, v96
	;; [unrolled: 1-line block ×5, first 2 shown]
	v_fma_f16 v20, v20, v74, -v105
	v_fmac_f16_e32 v107, v99, v74
	v_fma_f16 v21, v21, v73, -v109
	v_fmac_f16_e32 v111, v100, v73
	v_mul_f16_e32 v118, v22, v96
	v_mul_f16_e32 v119, v102, v95
	;; [unrolled: 1-line block ×3, first 2 shown]
	v_sub_f16_e32 v20, v14, v20
	v_sub_f16_e32 v99, v82, v107
	;; [unrolled: 1-line block ×4, first 2 shown]
	v_fma_f16 v22, v22, v74, -v117
	v_fmac_f16_e32 v118, v101, v74
	v_fma_f16 v23, v23, v73, -v119
	v_fmac_f16_e32 v120, v102, v73
	v_fma_f16 v14, v14, 2.0, -v20
	v_fma_f16 v82, v82, 2.0, -v99
	;; [unrolled: 1-line block ×4, first 2 shown]
	v_sub_f16_e32 v22, v16, v22
	v_sub_f16_e32 v101, v85, v118
	;; [unrolled: 1-line block ×4, first 2 shown]
	v_pack_b32_f16 v14, v14, v82
	v_pack_b32_f16 v15, v15, v83
	v_lshrrev_b32_e32 v111, 16, v80
	v_pack_b32_f16 v20, v20, v99
	v_pack_b32_f16 v21, v21, v100
	v_lshrrev_b32_e32 v109, 16, v79
	v_fma_f16 v16, v16, 2.0, -v22
	v_fma_f16 v17, v17, 2.0, -v23
	v_pack_b32_f16 v22, v22, v101
	v_pack_b32_f16 v23, v23, v102
	v_lshrrev_b32_e32 v107, 16, v78
	v_lshrrev_b32_e32 v105, 16, v77
	ds_store_2addr_b32 v36, v14, v15 offset1:51
	v_mul_f16_e32 v14, v103, v111
	v_mul_f16_e32 v15, v24, v111
	ds_store_2addr_b32 v36, v20, v21 offset0:102 offset1:153
	v_mul_f16_e32 v20, v104, v109
	v_mul_f16_e32 v21, v25, v109
	ds_store_2addr_b32 v139, v22, v23 offset0:50 offset1:101
	v_mul_f16_e32 v22, v108, v107
	v_mul_f16_e32 v23, v28, v107
	;; [unrolled: 1-line block ×4, first 2 shown]
	v_fma_f16 v14, v24, v80, -v14
	v_fmac_f16_e32 v15, v103, v80
	v_fma_f16 v20, v25, v79, -v20
	v_fmac_f16_e32 v21, v104, v79
	;; [unrolled: 2-line block ×4, first 2 shown]
	v_sub_f16_e32 v14, v18, v14
	v_sub_f16_e32 v15, v97, v15
	;; [unrolled: 1-line block ×8, first 2 shown]
	v_fma_f16 v85, v85, 2.0, -v101
	v_fma_f16 v86, v86, 2.0, -v102
	;; [unrolled: 1-line block ×10, first 2 shown]
	v_pack_b32_f16 v16, v16, v85
	v_pack_b32_f16 v17, v17, v86
	v_pack_b32_f16 v14, v14, v15
	v_pack_b32_f16 v18, v18, v28
	v_pack_b32_f16 v15, v20, v21
	v_pack_b32_f16 v19, v19, v29
	v_pack_b32_f16 v20, v22, v23
	v_pack_b32_f16 v22, v26, v82
	v_pack_b32_f16 v21, v24, v25
	v_pack_b32_f16 v23, v27, v83
	ds_store_2addr_b32 v36, v16, v17 offset0:204 offset1:255
	ds_store_2addr_b32 v113, v18, v14 offset0:152 offset1:254
	;; [unrolled: 1-line block ×5, first 2 shown]
	global_wb scope:SCOPE_SE
	s_wait_dscnt 0x0
	s_barrier_signal -1
	s_barrier_wait -1
	global_inv scope:SCOPE_SE
	s_clause 0x3
	global_load_b32 v83, v30, s[2:3] offset:748
	global_load_b32 v85, v30, s[2:3] offset:952
	;; [unrolled: 1-line block ×4, first 2 shown]
	ds_load_2addr_b32 v[14:15], v36 offset1:51
	ds_load_2addr_b32 v[16:17], v139 offset0:152 offset1:203
	ds_load_2addr_b32 v[18:19], v36 offset0:102 offset1:153
	;; [unrolled: 1-line block ×7, first 2 shown]
	global_wb scope:SCOPE_SE
	s_wait_loadcnt_dscnt 0x0
	s_barrier_signal -1
	s_barrier_wait -1
	global_inv scope:SCOPE_SE
	v_lshrrev_b32_e32 v97, 16, v14
	v_lshrrev_b32_e32 v98, 16, v16
	;; [unrolled: 1-line block ×20, first 2 shown]
	s_delay_alu instid0(VALU_DEP_4)
	v_mul_f16_e32 v123, v98, v112
	v_mul_f16_e32 v124, v16, v112
	;; [unrolled: 1-line block ×5, first 2 shown]
	v_mul_f16_e64 v128, v20, v108
	v_mul_f16_e64 v129, v104, v106
	;; [unrolled: 1-line block ×11, first 2 shown]
	v_fma_f16 v16, v16, v83, -v123
	v_fmac_f16_e32 v124, v98, v83
	v_fma_f16 v17, v17, v85, -v125
	v_fmac_f16_e32 v126, v100, v85
	v_fma_f16 v20, v20, v82, -v127
	v_fmac_f16_e64 v128, v102, v82
	v_fma_f16 v21, v21, v86, -v129
	v_fmac_f16_e64 v130, v104, v86
	;; [unrolled: 2-line block ×6, first 2 shown]
	v_sub_f16_e32 v16, v14, v16
	v_sub_f16_e32 v98, v97, v124
	;; [unrolled: 1-line block ×5, first 2 shown]
	v_sub_f16_e64 v102, v101, v128
	v_sub_f16_e32 v21, v19, v21
	v_sub_f16_e64 v104, v103, v130
	v_sub_f16_e32 v24, v22, v24
	;; [unrolled: 2-line block ×5, first 2 shown]
	v_sub_f16_e64 v120, v119, v138
	v_fma_f16 v14, v14, 2.0, -v16
	v_fma_f16 v97, v97, 2.0, -v98
	;; [unrolled: 1-line block ×8, first 2 shown]
	v_pack_b32_f16 v16, v16, v98
	v_pack_b32_f16 v17, v17, v100
	v_fma_f16 v22, v22, 2.0, -v24
	v_fma_f16 v113, v113, 2.0, -v114
	;; [unrolled: 1-line block ×8, first 2 shown]
	v_pack_b32_f16 v20, v20, v102
	v_pack_b32_f16 v21, v21, v104
	;; [unrolled: 1-line block ×8, first 2 shown]
	ds_store_2addr_b32 v36, v16, v17 offset0:204 offset1:255
	v_pack_b32_f16 v16, v18, v101
	v_pack_b32_f16 v17, v19, v103
	;; [unrolled: 1-line block ×4, first 2 shown]
	ds_store_2addr_b32 v139, v20, v21 offset0:50 offset1:101
	v_pack_b32_f16 v20, v26, v117
	v_pack_b32_f16 v21, v27, v119
	ds_store_2addr_b32 v140, v24, v25 offset0:100 offset1:151
	ds_store_2addr_b32 v140, v28, v29 offset0:202 offset1:253
	ds_store_2addr_b32 v36, v14, v15 offset1:51
	ds_store_2addr_b32 v36, v16, v17 offset0:102 offset1:153
	ds_store_2addr_b32 v139, v18, v19 offset0:152 offset1:203
	;; [unrolled: 1-line block ×3, first 2 shown]
	global_wb scope:SCOPE_SE
	s_wait_dscnt 0x0
	s_barrier_signal -1
	s_barrier_wait -1
	global_inv scope:SCOPE_SE
	s_clause 0x7
	global_load_b32 v97, v30, s[2:3] offset:1564
	global_load_b32 v100, v30, s[2:3] offset:1768
	;; [unrolled: 1-line block ×8, first 2 shown]
	ds_load_2addr_b32 v[132:133], v36 offset1:51
	ds_load_2addr_b32 v[14:15], v139 offset0:152 offset1:203
	ds_load_2addr_b32 v[135:136], v36 offset0:102 offset1:153
	;; [unrolled: 1-line block ×7, first 2 shown]
	s_wait_dscnt 0x7
	v_lshrrev_b32_e32 v22, 16, v132
	s_wait_dscnt 0x6
	v_lshrrev_b32_e32 v23, 16, v14
	v_lshrrev_b32_e32 v25, 16, v15
	s_wait_dscnt 0x4
	v_lshrrev_b32_e32 v27, 16, v16
	;; [unrolled: 3-line block ×4, first 2 shown]
	v_lshrrev_b32_e32 v126, 16, v21
	v_lshrrev_b32_e32 v24, 16, v133
	;; [unrolled: 1-line block ×8, first 2 shown]
	s_wait_loadcnt 0x7
	v_lshrrev_b32_e32 v120, 16, v97
	s_wait_loadcnt 0x6
	v_lshrrev_b32_e32 v119, 16, v100
	;; [unrolled: 2-line block ×8, first 2 shown]
	v_mul_f16_e64 v128, v23, v120
	v_mul_f16_e64 v129, v14, v120
	;; [unrolled: 1-line block ×16, first 2 shown]
	v_fma_f16 v14, v14, v97, -v128
	v_fmac_f16_e64 v129, v23, v97
	v_fma_f16 v23, v15, v100, -v130
	v_fmac_f16_e64 v134, v25, v100
	;; [unrolled: 2-line block ×4, first 2 shown]
	v_fma_f16 v18, v18, v103, -v150
	v_fma_f16 v25, v19, v99, -v152
	v_fmac_f16_e64 v151, v123, v103
	v_fmac_f16_e64 v153, v124, v99
	v_fma_f16 v20, v20, v101, -v154
	v_fma_f16 v123, v21, v104, -v156
	v_fmac_f16_e64 v155, v125, v101
	v_fmac_f16_e64 v157, v126, v104
	v_sub_f16_e64 v15, v132, v14
	v_sub_f16_e64 v131, v22, v129
	;; [unrolled: 1-line block ×16, first 2 shown]
	v_fma_f16 v14, v132, 2.0, -v15
	v_fma_f16 v134, v22, 2.0, -v131
	;; [unrolled: 1-line block ×10, first 2 shown]
	v_pack_b32_f16 v142, v15, v131
	v_pack_b32_f16 v143, v23, v130
	v_fma_f16 v135, v127, 2.0, -v126
	v_fma_f16 v133, v146, 2.0, -v125
	;; [unrolled: 1-line block ×4, first 2 shown]
	v_pack_b32_f16 v144, v19, v129
	v_pack_b32_f16 v145, v27, v128
	v_fma_f16 v132, v147, 2.0, -v124
	v_fma_f16 v127, v148, 2.0, -v123
	v_pack_b32_f16 v146, v29, v126
	v_pack_b32_f16 v147, v25, v125
	;; [unrolled: 1-line block ×6, first 2 shown]
	ds_store_2addr_b32 v139, v142, v143 offset0:152 offset1:203
	v_pack_b32_f16 v142, v18, v137
	v_pack_b32_f16 v143, v26, v136
	ds_store_2addr_b32 v141, v144, v145 offset0:126 offset1:177
	v_pack_b32_f16 v141, v28, v135
	v_pack_b32_f16 v144, v24, v133
	;; [unrolled: 3-line block ×3, first 2 shown]
	ds_store_2addr_b32 v140, v148, v149 offset0:202 offset1:253
	ds_store_2addr_b32 v36, v150, v151 offset1:51
	ds_store_2addr_b32 v36, v142, v143 offset0:102 offset1:153
	ds_store_2addr_b32 v36, v141, v144 offset0:204 offset1:255
	;; [unrolled: 1-line block ×3, first 2 shown]
	global_wb scope:SCOPE_SE
	s_wait_dscnt 0x0
	s_barrier_signal -1
	s_barrier_wait -1
	global_inv scope:SCOPE_SE
	s_and_saveexec_b32 s1, vcc_lo
	s_cbranch_execz .LBB0_13
; %bb.12:
	global_load_b32 v139, v30, s[12:13] offset:3264
	s_add_nc_u64 s[2:3], s[12:13], 0xcc0
	s_clause 0xf
	global_load_b32 v155, v30, s[2:3] offset:192
	global_load_b32 v156, v30, s[2:3] offset:384
	;; [unrolled: 1-line block ×16, first 2 shown]
	ds_load_b32 v140, v36
	v_add_nc_u32_e32 v171, 0x200, v30
	v_add_nc_u32_e32 v172, 0x400, v30
	;; [unrolled: 1-line block ×4, first 2 shown]
	s_wait_dscnt 0x0
	v_lshrrev_b32_e32 v141, 16, v140
	s_wait_loadcnt 0xf
	v_lshrrev_b32_e32 v175, 16, v155
	s_wait_loadcnt 0xe
	;; [unrolled: 2-line block ×12, first 2 shown]
	v_lshrrev_b32_e32 v186, 16, v166
	v_lshrrev_b32_e32 v142, 16, v139
	s_wait_loadcnt 0x3
	v_lshrrev_b32_e32 v187, 16, v167
	s_wait_loadcnt 0x2
	;; [unrolled: 2-line block ×4, first 2 shown]
	v_lshrrev_b32_e32 v190, 16, v170
	v_mul_f16_e64 v143, v141, v142
	v_mul_f16_e64 v142, v140, v142
	s_delay_alu instid0(VALU_DEP_2) | instskip(NEXT) | instid1(VALU_DEP_2)
	v_fma_f16 v140, v140, v139, -v143
	v_fmac_f16_e64 v142, v141, v139
	s_delay_alu instid0(VALU_DEP_1)
	v_pack_b32_f16 v139, v140, v142
	ds_store_b32 v36, v139
	ds_load_2addr_b32 v[139:140], v30 offset0:48 offset1:96
	ds_load_2addr_b32 v[141:142], v30 offset0:144 offset1:192
	;; [unrolled: 1-line block ×8, first 2 shown]
	s_wait_dscnt 0x7
	v_lshrrev_b32_e32 v191, 16, v139
	v_lshrrev_b32_e32 v193, 16, v140
	s_wait_dscnt 0x6
	v_lshrrev_b32_e32 v195, 16, v141
	v_lshrrev_b32_e32 v197, 16, v142
	;; [unrolled: 3-line block ×5, first 2 shown]
	v_mul_f16_e64 v192, v139, v175
	v_mul_f16_e64 v194, v140, v176
	s_wait_dscnt 0x2
	v_lshrrev_b32_e32 v211, 16, v149
	v_lshrrev_b32_e32 v213, 16, v150
	s_wait_dscnt 0x1
	v_lshrrev_b32_e32 v215, 16, v151
	v_lshrrev_b32_e32 v217, 16, v152
	;; [unrolled: 3-line block ×3, first 2 shown]
	v_mul_f16_e64 v175, v191, v175
	v_mul_f16_e64 v176, v193, v176
	v_mul_f16_e64 v196, v141, v177
	v_mul_f16_e64 v198, v142, v178
	v_mul_f16_e64 v177, v195, v177
	v_mul_f16_e64 v178, v197, v178
	v_mul_f16_e64 v200, v143, v179
	v_mul_f16_e64 v202, v144, v180
	v_mul_f16_e64 v179, v199, v179
	v_mul_f16_e64 v180, v201, v180
	v_mul_f16_e64 v204, v145, v181
	v_mul_f16_e64 v206, v146, v182
	v_mul_f16_e64 v181, v203, v181
	v_mul_f16_e64 v182, v205, v182
	v_mul_f16_e64 v208, v147, v183
	v_mul_f16_e64 v210, v148, v184
	v_mul_f16_e64 v183, v207, v183
	v_mul_f16_e64 v184, v209, v184
	v_mul_f16_e64 v212, v149, v185
	v_mul_f16_e64 v214, v150, v186
	v_mul_f16_e64 v216, v151, v187
	v_mul_f16_e64 v218, v152, v188
	v_mul_f16_e64 v220, v153, v189
	v_mul_f16_e64 v222, v154, v190
	v_fmac_f16_e64 v192, v191, v155
	v_fmac_f16_e64 v194, v193, v156
	v_mul_f16_e64 v185, v211, v185
	v_mul_f16_e64 v186, v213, v186
	;; [unrolled: 1-line block ×6, first 2 shown]
	v_fma_f16 v139, v139, v155, -v175
	v_fma_f16 v140, v140, v156, -v176
	v_fmac_f16_e64 v196, v195, v157
	v_fmac_f16_e64 v198, v197, v158
	v_fma_f16 v141, v141, v157, -v177
	v_fma_f16 v142, v142, v158, -v178
	v_fmac_f16_e64 v200, v199, v159
	v_fmac_f16_e64 v202, v201, v160
	;; [unrolled: 4-line block ×5, first 2 shown]
	v_fmac_f16_e64 v216, v215, v167
	v_fmac_f16_e64 v218, v217, v168
	;; [unrolled: 1-line block ×4, first 2 shown]
	v_fma_f16 v149, v149, v165, -v185
	v_fma_f16 v150, v150, v166, -v186
	;; [unrolled: 1-line block ×6, first 2 shown]
	v_pack_b32_f16 v139, v139, v192
	v_pack_b32_f16 v140, v140, v194
	;; [unrolled: 1-line block ×16, first 2 shown]
	ds_store_2addr_b32 v30, v139, v140 offset0:48 offset1:96
	ds_store_2addr_b32 v30, v141, v142 offset0:144 offset1:192
	ds_store_2addr_b32 v171, v143, v144 offset0:112 offset1:160
	ds_store_2addr_b32 v172, v145, v146 offset0:80 offset1:128
	ds_store_2addr_b32 v172, v147, v148 offset0:176 offset1:224
	ds_store_2addr_b32 v173, v149, v150 offset0:16 offset1:64
	ds_store_2addr_b32 v173, v151, v152 offset0:112 offset1:160
	ds_store_2addr_b32 v174, v153, v154 offset0:80 offset1:128
.LBB0_13:
	s_wait_alu 0xfffe
	s_or_b32 exec_lo, exec_lo, s1
	global_wb scope:SCOPE_SE
	s_wait_dscnt 0x0
	s_barrier_signal -1
	s_barrier_wait -1
	global_inv scope:SCOPE_SE
	s_and_saveexec_b32 s1, vcc_lo
	s_cbranch_execz .LBB0_15
; %bb.14:
	v_add_nc_u32_e32 v16, 0x400, v36
	v_add_nc_u32_e32 v17, 0x600, v36
	;; [unrolled: 1-line block ×3, first 2 shown]
	ds_load_2addr_b32 v[14:15], v36 offset1:48
	ds_load_2addr_b32 v[22:23], v36 offset0:96 offset1:144
	ds_load_2addr_b32 v[18:19], v36 offset0:192 offset1:240
	;; [unrolled: 1-line block ×7, first 2 shown]
	ds_load_b32 v121, v36 offset:3072
	s_wait_dscnt 0x4
	v_lshrrev_b32_e32 v135, 16, v28
	v_lshrrev_b32_e32 v134, 16, v14
	;; [unrolled: 1-line block ×10, first 2 shown]
	s_wait_dscnt 0x3
	v_lshrrev_b32_e32 v133, 16, v24
	v_lshrrev_b32_e32 v125, 16, v25
	s_wait_dscnt 0x2
	v_lshrrev_b32_e32 v132, 16, v20
	v_lshrrev_b32_e32 v124, 16, v21
	;; [unrolled: 3-line block ×3, first 2 shown]
	s_wait_dscnt 0x0
	v_lshrrev_b32_e32 v1, 16, v121
.LBB0_15:
	s_wait_alu 0xfffe
	s_or_b32 exec_lo, exec_lo, s1
	s_delay_alu instid0(VALU_DEP_1)
	v_sub_f16_e64 v188, v131, v1
	v_add_f16_e64 v161, v1, v131
	v_add_f16_e64 v186, v121, v15
	v_sub_f16_e64 v142, v15, v121
	v_sub_f16_e64 v179, v138, v123
	v_mul_f16_e64 v187, 0xb5c8, v188
	v_mul_f16_e64 v31, 0x3b76, v161
	v_add_f16_e64 v166, v123, v138
	v_add_f16_e64 v141, v17, v22
	v_sub_f16_e64 v145, v22, v17
	v_fma_f16 v139, v186, 0x3b76, -v187
	v_fma_f16 v140, 0xb5c8, v142, v31
	v_mul_f16_e64 v32, 0xb964, v179
	v_mul_f16_e64 v33, 0x39e9, v166
	v_sub_f16_e64 v180, v130, v127
	v_add_f16_e64 v139, v14, v139
	v_add_f16_e64 v140, v134, v140
	v_fma_f16 v149, v141, 0x39e9, -v32
	v_fma_f16 v151, 0xb964, v145, v33
	v_add_f16_e64 v171, v127, v130
	v_add_f16_e64 v147, v16, v23
	v_mul_f16_e64 v35, 0xbb29, v180
	v_sub_f16_e64 v181, v137, v124
	v_add_f16_e64 v139, v149, v139
	v_sub_f16_e64 v149, v23, v16
	v_mul_f16_e64 v45, 0x3722, v171
	v_add_f16_e64 v140, v151, v140
	v_fma_f16 v155, v147, 0x3722, -v35
	v_add_f16_e64 v174, v124, v137
	v_add_f16_e64 v151, v21, v18
	v_mul_f16_e64 v46, 0xbbf7, v181
	v_fma_f16 v156, 0xbb29, v149, v45
	v_sub_f16_e64 v153, v18, v21
	v_mul_f16_e64 v47, 0x2de8, v174
	v_add_f16_e64 v139, v155, v139
	v_sub_f16_e64 v182, v129, v132
	v_fma_f16 v157, v151, 0x2de8, -v46
	v_add_f16_e64 v175, v132, v129
	v_add_f16_e64 v140, v156, v140
	v_fma_f16 v159, 0xbbf7, v153, v47
	v_add_f16_e64 v155, v20, v19
	v_mul_f16_e64 v48, 0xbbb2, v182
	v_add_f16_e64 v139, v157, v139
	v_sub_f16_e64 v157, v19, v20
	v_mul_f16_e64 v49, 0xb461, v175
	v_sub_f16_e64 v183, v136, v125
	v_add_f16_e64 v176, v125, v136
	v_add_f16_e64 v140, v159, v140
	v_fma_f16 v164, v155, 0xb461, -v48
	v_fma_f16 v165, 0xbbb2, v157, v49
	v_add_f16_e64 v159, v25, v26
	v_sub_f16_e64 v162, v26, v25
	v_mul_f16_e64 v50, 0xba62, v183
	v_mul_f16_e64 v51, 0xb8d2, v176
	v_sub_f16_e64 v185, v128, v133
	v_add_f16_e64 v177, v133, v128
	v_add_f16_e64 v139, v164, v139
	;; [unrolled: 1-line block ×3, first 2 shown]
	v_fma_f16 v167, v159, 0xb8d2, -v50
	v_fma_f16 v170, 0xba62, v162, v51
	v_add_f16_e64 v164, v24, v27
	v_mul_f16_e64 v52, 0xb836, v185
	v_sub_f16_e64 v168, v27, v24
	v_mul_f16_e64 v53, 0xbacd, v177
	v_sub_f16_e64 v184, v135, v126
	v_add_f16_e64 v178, v126, v135
	v_add_f16_e64 v139, v167, v139
	;; [unrolled: 1-line block ×3, first 2 shown]
	v_fma_f16 v189, v164, 0xbacd, -v52
	v_fma_f16 v190, 0xb836, v168, v53
	v_add_f16_e64 v167, v29, v28
	v_sub_f16_e64 v172, v28, v29
	v_mul_f16_e64 v54, 0xb1e1, v184
	v_mul_f16_e64 v55, 0xbbdd, v178
	v_add_f16_e64 v139, v189, v139
	v_add_f16_e64 v140, v190, v140
	global_wb scope:SCOPE_SE
	v_fma_f16 v189, v167, 0xbbdd, -v54
	v_fma_f16 v190, 0xb1e1, v172, v55
	s_barrier_signal -1
	s_barrier_wait -1
	global_inv scope:SCOPE_SE
	v_add_f16_e64 v196, v189, v139
	v_add_f16_e64 v200, v190, v140
	s_and_saveexec_b32 s1, vcc_lo
	s_cbranch_execz .LBB0_17
; %bb.16:
	v_add_f16_e32 v15, v15, v14
	v_mul_f16_e64 v192, 0xbbf7, v145
	v_mul_f16_e64 v193, 0xbbf7, v179
	;; [unrolled: 1-line block ×4, first 2 shown]
	v_add_f16_e32 v15, v22, v15
	v_mul_f16_e64 v22, 0xb836, v188
	s_clause 0x2
	scratch_store_b32 off, v228, off offset:8
	scratch_store_b32 off, v231, off offset:12
	;; [unrolled: 1-line block ×3, first 2 shown]
	v_add_f16_e32 v15, v23, v15
	v_mul_f16_e64 v23, 0xbbb2, v188
	v_mul_f16_e64 v197, 0xba62, v180
	;; [unrolled: 1-line block ×4, first 2 shown]
	v_add_f16_e32 v15, v18, v15
	v_mul_f16_e64 v18, 0xb964, v188
	v_mul_f16_e64 v140, 0x35c8, v172
	;; [unrolled: 1-line block ×4, first 2 shown]
	v_add_f16_e32 v15, v19, v15
	v_mul_f16_e64 v19, 0xbb29, v188
	v_fma_f16 v189, v186, 0x39e9, -v18
	v_fmac_f16_e64 v18, 0x39e9, v186
	v_mul_f16_e64 v203, 0xbb29, v142
	v_add_f16_e32 v15, v26, v15
	v_fma_f16 v26, v186, 0xbacd, -v22
	v_fmac_f16_e64 v22, 0xbacd, v186
	v_add_f16_e32 v18, v14, v18
	v_mul_f16_e64 v204, 0xba62, v145
	v_add_f16_e32 v15, v27, v15
	v_add_f16_e32 v26, v14, v26
	;; [unrolled: 1-line block ×3, first 2 shown]
	v_mul_f16_e64 v205, 0x3b29, v185
	v_mul_f16_e64 v206, 0x31e1, v149
	v_add_f16_e32 v15, v28, v15
	v_fma_f16 v28, v186, 0xb461, -v23
	v_fmac_f16_e64 v23, 0xb461, v186
	v_mul_f16_e64 v207, 0x3bb2, v153
	v_mul_f16_e64 v208, 0x3964, v157
	v_add_f16_e32 v15, v29, v15
	v_add_f16_e32 v28, v14, v28
	;; [unrolled: 1-line block ×3, first 2 shown]
	v_mul_f16_e64 v209, 0xba62, v179
	v_mul_f16_e64 v218, 0xb1e1, v145
	v_add_f16_e32 v15, v24, v15
	v_mul_f16_e64 v24, 0xba62, v188
	v_dual_mov_b32 v118, v88 :: v_dual_mov_b32 v89, v110
	s_delay_alu instid0(VALU_DEP_4) | instskip(NEXT) | instid1(VALU_DEP_4)
	v_fma_f16 v219, 0xbbdd, v166, v218
	v_add_f16_e32 v15, v25, v15
	s_delay_alu instid0(VALU_DEP_4)
	v_fma_f16 v27, v186, 0xb8d2, -v24
	v_fmac_f16_e64 v24, 0xb8d2, v186
	v_mov_b32_e32 v88, v224
	v_dual_mov_b32 v110, v95 :: v_dual_mov_b32 v91, v227
	v_add_f16_e32 v15, v20, v15
	v_mul_f16_e64 v20, 0xb1e1, v188
	v_add_f16_e32 v27, v14, v27
	v_add_f16_e32 v24, v14, v24
	v_mov_b32_e32 v95, v90
	v_add_f16_e32 v15, v21, v15
	v_mul_f16_e64 v21, 0xbbf7, v188
	v_fma_f16 v25, v186, 0xbbdd, -v20
	v_fmac_f16_e64 v20, 0xbbdd, v186
	v_fma_f16 v188, v186, 0x3722, -v19
	v_fmac_f16_e64 v19, 0x3722, v186
	;; [unrolled: 2-line block ×3, first 2 shown]
	v_mul_f16_e64 v186, 0x3b76, v186
	v_add_f16_e64 v188, v14, v188
	v_add_f16_e32 v25, v14, v25
	v_add_f16_e32 v29, v14, v29
	;; [unrolled: 1-line block ×3, first 2 shown]
	v_add_f16_e64 v186, v186, v187
	v_add_f16_e64 v187, v14, v189
	v_add_f16_e32 v21, v14, v21
	v_add_f16_e32 v19, v14, v19
	v_dual_mov_b32 v90, v226 :: v_dual_mov_b32 v105, v230
	v_add_f16_e64 v14, v14, v186
	v_mul_f16_e64 v186, 0xb964, v142
	s_clause 0x1
	scratch_store_b32 off, v229, off offset:4
	scratch_store_b32 off, v233, off
	v_dual_mov_b32 v190, v107 :: v_dual_mov_b32 v107, v232
	s_clause 0x1
	scratch_store_b32 off, v14, off offset:32
	scratch_store_b32 off, v50, off offset:84
	v_add_f16_e32 v14, v16, v15
	v_fma_f16 v15, 0x39e9, v161, v186
	v_fma_f16 v16, 0x2de8, v166, v192
	v_dual_mov_b32 v111, v235 :: v_dual_mov_b32 v150, v236
	s_delay_alu instid0(VALU_DEP_4) | instskip(NEXT) | instid1(VALU_DEP_4)
	v_add_f16_e32 v14, v17, v14
	v_add_f16_e64 v15, v134, v15
	s_clause 0x1
	scratch_store_b32 off, v18, off offset:44
	scratch_store_b32 off, v32, off offset:96
	v_mul_f16_e64 v18, 0x3bb2, v162
	scratch_store_b32 off, v14, off offset:20 ; 4-byte Folded Spill
	v_add_f16_e32 v15, v16, v15
	v_fma_f16 v16, v141, 0x2de8, -v193
	v_mul_f16_e64 v250, 0x3bb2, v145
	v_mov_b32_e32 v189, v47
	v_dual_mov_b32 v163, v68 :: v_dual_mov_b32 v156, v56
	s_delay_alu instid0(VALU_DEP_4) | instskip(SKIP_4) | instid1(VALU_DEP_4)
	v_add_f16_e64 v16, v16, v187
	v_mul_f16_e64 v187, 0xba62, v149
	v_fma_f16 v251, 0xb461, v166, v250
	v_dual_mov_b32 v143, v120 :: v_dual_mov_b32 v120, v69
	v_mov_b32_e32 v165, v70
	v_fma_f16 v17, 0xb8d2, v171, v187
	v_dual_mov_b32 v169, v71 :: v_dual_mov_b32 v122, v112
	v_dual_mov_b32 v191, v61 :: v_dual_mov_b32 v144, v63
	s_delay_alu instid0(VALU_DEP_3) | instskip(SKIP_3) | instid1(VALU_DEP_3)
	v_add_f16_e32 v15, v17, v15
	v_fma_f16 v17, 0xbbdd, v174, v194
	v_dual_mov_b32 v139, v62 :: v_dual_mov_b32 v158, v64
	v_dual_mov_b32 v154, v65 :: v_dual_mov_b32 v173, v81
	v_add_f16_e32 v15, v17, v15
	v_fma_f16 v17, 0xbacd, v175, v195
	v_mov_b32_e32 v160, v66
	v_mov_b32_e32 v152, v1
	v_fmac_f16_e64 v193, 0x2de8, v141
	v_mov_b32_e32 v148, v108
	v_add_f16_e32 v15, v17, v15
	v_fma_f16 v17, 0xb461, v176, v18
	s_clause 0x3
	scratch_store_b32 off, v51, off offset:104
	scratch_store_b32 off, v52, off offset:80
	;; [unrolled: 1-line block ×4, first 2 shown]
	v_add_f16_e32 v15, v17, v15
	v_fma_f16 v17, v147, 0xb8d2, -v197
	v_fmac_f16_e64 v197, 0xb8d2, v147
	scratch_store_b32 off, v46, off offset:100 ; 4-byte Folded Spill
	v_dual_mov_b32 v146, v119 :: v_dual_mov_b32 v119, v67
	v_add_f16_e32 v16, v17, v16
	v_fma_f16 v17, 0x3722, v177, v198
	v_mov_b32_e32 v108, v240
	v_mov_b32_e32 v170, v72
	;; [unrolled: 1-line block ×4, first 2 shown]
	v_add_f16_e32 v15, v17, v15
	v_fma_f16 v17, v151, 0xbbdd, -v199
	v_dual_mov_b32 v92, v93 :: v_dual_mov_b32 v93, v60
	v_mul_f16_e64 v60, 0x35c8, v145
	v_fmac_f16_e64 v199, 0xbbdd, v151
	s_delay_alu instid0(VALU_DEP_4) | instskip(SKIP_1) | instid1(VALU_DEP_4)
	v_add_f16_e32 v16, v17, v16
	v_fma_f16 v17, 0x3b76, v178, v140
	v_fma_f16 v61, 0x3b76, v166, v60
	v_fma_f16 v60, v166, 0x3b76, -v60
	s_delay_alu instid0(VALU_DEP_3)
	v_add_f16_e32 v14, v17, v15
	v_fma_f16 v17, v155, 0xbacd, -v201
	scratch_store_b32 off, v19, off offset:52 ; 4-byte Folded Spill
	v_fma_f16 v19, 0xb8d2, v166, v204
	v_mov_b32_e32 v15, v113
	scratch_store_b32 off, v14, off offset:24 ; 4-byte Folded Spill
	v_add_f16_e32 v16, v17, v16
	v_fma_f16 v17, v159, 0xb461, -v202
	v_mov_b32_e32 v113, v238
	v_fmac_f16_e64 v201, 0xbacd, v155
	v_fmac_f16_e64 v202, 0xb461, v159
	s_delay_alu instid0(VALU_DEP_4) | instskip(SKIP_1) | instid1(VALU_DEP_1)
	v_add_f16_e32 v16, v17, v16
	v_fma_f16 v17, 0x3722, v161, v203
	v_add_f16_e64 v17, v134, v17
	s_delay_alu instid0(VALU_DEP_1) | instskip(SKIP_2) | instid1(VALU_DEP_2)
	v_add_f16_e32 v17, v19, v17
	v_fma_f16 v19, v164, 0x3722, -v205
	v_fmac_f16_e64 v205, 0x3722, v164
	v_add_f16_e32 v16, v19, v16
	v_fma_f16 v19, 0xbbdd, v171, v206
	s_delay_alu instid0(VALU_DEP_1) | instskip(SKIP_1) | instid1(VALU_DEP_1)
	v_add_f16_e32 v17, v19, v17
	v_mul_f16_e64 v19, 0x35c8, v184
	v_fma_f16 v20, v167, 0x3b76, -v19
	v_fmac_f16_e64 v19, 0x3b76, v167
	s_delay_alu instid0(VALU_DEP_2) | instskip(SKIP_4) | instid1(VALU_DEP_1)
	v_add_f16_e32 v14, v20, v16
	v_fma_f16 v20, 0xb461, v174, v207
	scratch_store_b32 off, v14, off offset:28 ; 4-byte Folded Spill
	v_add_f16_e32 v17, v20, v17
	v_fma_f16 v20, 0x39e9, v175, v208
	v_add_f16_e32 v17, v20, v17
	v_fma_f16 v20, v141, 0xb8d2, -v209
	v_fmac_f16_e64 v209, 0xb8d2, v141
	s_delay_alu instid0(VALU_DEP_2) | instskip(SKIP_1) | instid1(VALU_DEP_1)
	v_add_f16_e64 v20, v20, v188
	v_mul_f16_e64 v188, 0xb5c8, v162
	v_fma_f16 v210, 0x3b76, v176, v188
	s_delay_alu instid0(VALU_DEP_1) | instskip(SKIP_1) | instid1(VALU_DEP_1)
	v_add_f16_e64 v17, v210, v17
	v_mul_f16_e64 v210, 0x31e1, v180
	v_fma_f16 v211, v147, 0xbbdd, -v210
	v_fmac_f16_e64 v210, 0xbbdd, v147
	s_delay_alu instid0(VALU_DEP_2) | instskip(SKIP_1) | instid1(VALU_DEP_1)
	v_add_f16_e64 v20, v211, v20
	v_mul_f16_e64 v211, 0xbbf7, v168
	v_fma_f16 v212, 0x2de8, v177, v211
	s_delay_alu instid0(VALU_DEP_1) | instskip(SKIP_1) | instid1(VALU_DEP_1)
	v_add_f16_e64 v17, v212, v17
	v_mul_f16_e64 v212, 0x3bb2, v181
	v_fma_f16 v213, v151, 0xb461, -v212
	v_fmac_f16_e64 v212, 0xb461, v151
	s_delay_alu instid0(VALU_DEP_2) | instskip(SKIP_1) | instid1(VALU_DEP_1)
	v_add_f16_e64 v20, v213, v20
	v_mul_f16_e64 v213, 0xb836, v172
	v_fma_f16 v214, 0xbacd, v178, v213
	s_delay_alu instid0(VALU_DEP_1) | instskip(SKIP_4) | instid1(VALU_DEP_2)
	v_add_f16_e64 v14, v214, v17
	v_mul_f16_e64 v214, 0x3964, v182
	scratch_store_b32 off, v14, off offset:36 ; 4-byte Folded Spill
	v_fma_f16 v215, v155, 0x39e9, -v214
	v_fmac_f16_e64 v214, 0x39e9, v155
	v_add_f16_e64 v20, v215, v20
	v_mul_f16_e64 v215, 0xb5c8, v183
	s_delay_alu instid0(VALU_DEP_1) | instskip(SKIP_1) | instid1(VALU_DEP_2)
	v_fma_f16 v216, v159, 0x3b76, -v215
	v_fmac_f16_e64 v215, 0x3b76, v159
	v_add_f16_e64 v20, v216, v20
	v_mul_f16_e64 v216, 0xbbf7, v142
	s_delay_alu instid0(VALU_DEP_1) | instskip(NEXT) | instid1(VALU_DEP_1)
	v_fma_f16 v217, 0x2de8, v161, v216
	v_add_f16_e64 v217, v134, v217
	s_delay_alu instid0(VALU_DEP_1) | instskip(SKIP_1) | instid1(VALU_DEP_1)
	v_add_f16_e64 v217, v219, v217
	v_mul_f16_e64 v219, 0xbbf7, v185
	v_fma_f16 v220, v164, 0x2de8, -v219
	v_fmac_f16_e64 v219, 0x2de8, v164
	s_delay_alu instid0(VALU_DEP_2) | instskip(SKIP_1) | instid1(VALU_DEP_1)
	v_add_f16_e64 v20, v220, v20
	v_mul_f16_e64 v220, 0x3bb2, v149
	v_fma_f16 v221, 0xb461, v171, v220
	s_delay_alu instid0(VALU_DEP_1) | instskip(SKIP_1) | instid1(VALU_DEP_1)
	v_add_f16_e64 v217, v221, v217
	v_mul_f16_e64 v221, 0xb836, v184
	v_fma_f16 v222, v167, 0xbacd, -v221
	v_fmac_f16_e64 v221, 0xbacd, v167
	s_delay_alu instid0(VALU_DEP_2) | instskip(SKIP_4) | instid1(VALU_DEP_1)
	v_add_f16_e64 v14, v222, v20
	v_mul_f16_e64 v222, 0x35c8, v153
	v_mov_b32_e32 v20, v55
	scratch_store_b32 off, v14, off offset:40 ; 4-byte Folded Spill
	v_fma_f16 v223, 0x3b76, v174, v222
	v_add_f16_e64 v217, v223, v217
	v_mul_f16_e64 v223, 0xbb29, v157
	s_delay_alu instid0(VALU_DEP_1) | instskip(NEXT) | instid1(VALU_DEP_1)
	v_fma_f16 v224, 0x3722, v175, v223
	v_add_f16_e64 v217, v224, v217
	v_mul_f16_e64 v224, 0xb1e1, v179
	s_delay_alu instid0(VALU_DEP_1) | instskip(SKIP_1) | instid1(VALU_DEP_2)
	v_fma_f16 v225, v141, 0xbbdd, -v224
	v_fmac_f16_e64 v224, 0xbbdd, v141
	v_add_f16_e64 v29, v225, v29
	v_mul_f16_e64 v225, 0xb836, v162
	s_delay_alu instid0(VALU_DEP_3) | instskip(SKIP_4) | instid1(VALU_DEP_1)
	v_add_f16_e64 v21, v224, v21
	v_mov_b32_e32 v224, v88
	v_mov_b32_e32 v88, v118
	v_lshrrev_b32_e32 v118, 16, v102
	v_fma_f16 v226, 0xbacd, v176, v225
	v_add_f16_e64 v217, v226, v217
	v_mul_f16_e64 v226, 0x3bb2, v180
	s_delay_alu instid0(VALU_DEP_1) | instskip(SKIP_1) | instid1(VALU_DEP_2)
	v_fma_f16 v227, v147, 0xb461, -v226
	v_fmac_f16_e64 v226, 0xb461, v147
	v_add_f16_e64 v29, v227, v29
	v_mul_f16_e64 v227, 0x3a62, v168
	s_delay_alu instid0(VALU_DEP_3) | instskip(SKIP_2) | instid1(VALU_DEP_4)
	v_add_f16_e64 v21, v226, v21
	v_mov_b32_e32 v226, v90
	v_dual_mov_b32 v90, v95 :: v_dual_mov_b32 v95, v110
	v_fma_f16 v228, 0xb8d2, v177, v227
	v_mov_b32_e32 v110, v89
	v_lshrrev_b32_e32 v89, 16, v6
	s_delay_alu instid0(VALU_DEP_3) | instskip(SKIP_1) | instid1(VALU_DEP_1)
	v_add_f16_e64 v217, v228, v217
	v_mul_f16_e64 v228, 0x35c8, v181
	v_fma_f16 v229, v151, 0x3b76, -v228
	v_fmac_f16_e64 v228, 0x3b76, v151
	s_delay_alu instid0(VALU_DEP_2) | instskip(SKIP_1) | instid1(VALU_DEP_3)
	v_add_f16_e64 v29, v229, v29
	v_mul_f16_e64 v229, 0x3964, v172
	v_add_f16_e64 v21, v228, v21
	scratch_load_b32 v228, off, off offset:8 ; 4-byte Folded Reload
	v_fma_f16 v230, 0x39e9, v178, v229
	s_delay_alu instid0(VALU_DEP_1)
	v_add_f16_e64 v14, v230, v217
	v_mul_f16_e64 v230, 0xbb29, v182
	v_mov_b32_e32 v217, v31
	scratch_store_b32 off, v14, off offset:48 ; 4-byte Folded Spill
	v_fma_f16 v231, v155, 0x3722, -v230
	v_dual_mov_b32 v14, v109 :: v_dual_mov_b32 v109, v234
	v_mul_f16_e64 v234, 0x3836, v145
	v_fmac_f16_e64 v230, 0x3722, v155
	s_delay_alu instid0(VALU_DEP_4) | instskip(SKIP_1) | instid1(VALU_DEP_4)
	v_add_f16_e64 v29, v231, v29
	v_mul_f16_e64 v231, 0xb836, v183
	v_fma_f16 v235, 0xbacd, v166, v234
	s_delay_alu instid0(VALU_DEP_4) | instskip(SKIP_1) | instid1(VALU_DEP_4)
	v_add_f16_e64 v21, v230, v21
	v_mov_b32_e32 v230, v105
	v_fma_f16 v232, v159, 0xbacd, -v231
	v_fmac_f16_e64 v231, 0xbacd, v159
	v_lshrrev_b32_e32 v105, 16, v77
	s_delay_alu instid0(VALU_DEP_3) | instskip(SKIP_1) | instid1(VALU_DEP_4)
	v_add_f16_e64 v29, v232, v29
	v_mul_f16_e64 v232, 0xbbb2, v142
	v_add_f16_e64 v21, v231, v21
	scratch_load_b32 v231, off, off offset:12 ; 4-byte Folded Reload
	v_fma_f16 v233, 0xb461, v161, v232
	s_delay_alu instid0(VALU_DEP_1) | instskip(NEXT) | instid1(VALU_DEP_1)
	v_add_f16_e64 v233, v134, v233
	v_add_f16_e64 v233, v235, v233
	v_mul_f16_e64 v235, 0x3a62, v185
	s_delay_alu instid0(VALU_DEP_1) | instskip(SKIP_1) | instid1(VALU_DEP_2)
	v_fma_f16 v236, v164, 0xb8d2, -v235
	v_fmac_f16_e64 v235, 0xb8d2, v164
	v_add_f16_e64 v29, v236, v29
	v_mul_f16_e64 v236, 0x3964, v149
	s_delay_alu instid0(VALU_DEP_3) | instskip(SKIP_2) | instid1(VALU_DEP_4)
	v_add_f16_e64 v21, v235, v21
	v_mov_b32_e32 v235, v111
	v_lshrrev_b32_e32 v111, 16, v80
	v_fma_f16 v237, 0x39e9, v171, v236
	s_delay_alu instid0(VALU_DEP_1) | instskip(SKIP_1) | instid1(VALU_DEP_1)
	v_add_f16_e64 v233, v237, v233
	v_mul_f16_e64 v237, 0x3964, v184
	v_fma_f16 v238, v167, 0x39e9, -v237
	v_fmac_f16_e64 v237, 0x39e9, v167
	s_delay_alu instid0(VALU_DEP_2) | instskip(SKIP_2) | instid1(VALU_DEP_4)
	v_add_f16_e64 v16, v238, v29
	v_mul_f16_e64 v238, 0xbb29, v153
	v_mov_b32_e32 v29, v45
	v_add_f16_e64 v21, v237, v21
	scratch_load_b32 v237, off, off offset:16 ; 4-byte Folded Reload
	scratch_store_b32 off, v16, off offset:56 ; 4-byte Folded Spill
	v_dual_mov_b32 v16, v115 :: v_dual_mov_b32 v115, v239
	v_fma_f16 v239, 0x3722, v174, v238
	s_delay_alu instid0(VALU_DEP_1) | instskip(SKIP_1) | instid1(VALU_DEP_1)
	v_add_f16_e64 v233, v239, v233
	v_mul_f16_e64 v239, 0xb1e1, v157
	v_fma_f16 v240, 0xbbdd, v175, v239
	s_delay_alu instid0(VALU_DEP_1) | instskip(SKIP_1) | instid1(VALU_DEP_1)
	v_add_f16_e64 v233, v240, v233
	v_mul_f16_e64 v240, 0x3836, v179
	v_fma_f16 v241, v141, 0xbacd, -v240
	v_fmac_f16_e64 v240, 0xbacd, v141
	s_delay_alu instid0(VALU_DEP_2) | instskip(SKIP_1) | instid1(VALU_DEP_3)
	v_add_f16_e64 v28, v241, v28
	v_mul_f16_e64 v241, 0x3bf7, v162
	v_add_f16_e64 v23, v240, v23
	v_mov_b32_e32 v240, v108
	v_mov_b32_e32 v108, v148
	s_delay_alu instid0(VALU_DEP_4) | instskip(NEXT) | instid1(VALU_DEP_1)
	v_fma_f16 v242, 0x2de8, v176, v241
	v_add_f16_e64 v233, v242, v233
	v_mul_f16_e64 v242, 0x3964, v180
	s_delay_alu instid0(VALU_DEP_1) | instskip(SKIP_1) | instid1(VALU_DEP_2)
	v_fma_f16 v243, v147, 0x39e9, -v242
	v_fmac_f16_e64 v242, 0x39e9, v147
	v_add_f16_e64 v28, v243, v28
	v_mul_f16_e64 v243, 0xb5c8, v168
	s_delay_alu instid0(VALU_DEP_3) | instskip(NEXT) | instid1(VALU_DEP_2)
	v_add_f16_e64 v23, v242, v23
	v_fma_f16 v244, 0x3b76, v177, v243
	s_delay_alu instid0(VALU_DEP_1) | instskip(SKIP_1) | instid1(VALU_DEP_1)
	v_add_f16_e64 v233, v244, v233
	v_mul_f16_e64 v244, 0xbb29, v181
	v_fma_f16 v245, v151, 0x3722, -v244
	v_fmac_f16_e64 v244, 0x3722, v151
	s_delay_alu instid0(VALU_DEP_2) | instskip(SKIP_1) | instid1(VALU_DEP_3)
	v_add_f16_e64 v28, v245, v28
	v_mul_f16_e64 v245, 0xba62, v172
	v_add_f16_e64 v23, v244, v23
	s_delay_alu instid0(VALU_DEP_2) | instskip(NEXT) | instid1(VALU_DEP_1)
	v_fma_f16 v246, 0xb8d2, v178, v245
	v_add_f16_e64 v17, v246, v233
	v_mul_f16_e64 v246, 0xb1e1, v182
	v_mov_b32_e32 v233, v49
	v_mul_f16_e64 v49, 0x3b29, v145
	scratch_store_b32 off, v17, off offset:60 ; 4-byte Folded Spill
	v_fma_f16 v247, v155, 0xbbdd, -v246
	v_fmac_f16_e64 v246, 0xbbdd, v155
	v_fma_f16 v50, 0x3722, v166, v49
	v_fma_f16 v49, v166, 0x3722, -v49
	s_delay_alu instid0(VALU_DEP_4) | instskip(SKIP_2) | instid1(VALU_DEP_2)
	v_add_f16_e64 v28, v247, v28
	v_mul_f16_e64 v247, 0x3bf7, v183
	v_add_f16_e64 v23, v246, v23
	v_fma_f16 v248, v159, 0x2de8, -v247
	v_fmac_f16_e64 v247, 0x2de8, v159
	s_delay_alu instid0(VALU_DEP_2) | instskip(SKIP_1) | instid1(VALU_DEP_3)
	v_add_f16_e64 v28, v248, v28
	v_mul_f16_e64 v248, 0xba62, v142
	v_add_f16_e64 v23, v247, v23
	s_delay_alu instid0(VALU_DEP_2) | instskip(NEXT) | instid1(VALU_DEP_1)
	v_fma_f16 v249, 0xb8d2, v161, v248
	v_add_f16_e64 v249, v134, v249
	s_delay_alu instid0(VALU_DEP_1) | instskip(SKIP_1) | instid1(VALU_DEP_1)
	v_add_f16_e64 v249, v251, v249
	v_mul_f16_e64 v251, 0xb5c8, v185
	v_fma_f16 v252, v164, 0x3b76, -v251
	v_fmac_f16_e64 v251, 0x3b76, v164
	s_delay_alu instid0(VALU_DEP_2) | instskip(SKIP_1) | instid1(VALU_DEP_3)
	v_add_f16_e64 v28, v252, v28
	v_mul_f16_e64 v252, 0xb5c8, v149
	v_add_f16_e64 v23, v251, v23
	s_delay_alu instid0(VALU_DEP_2) | instskip(NEXT) | instid1(VALU_DEP_1)
	v_fma_f16 v253, 0x3b76, v171, v252
	v_add_f16_e64 v249, v253, v249
	v_mul_f16_e64 v253, 0xba62, v184
	s_delay_alu instid0(VALU_DEP_1) | instskip(SKIP_1) | instid1(VALU_DEP_2)
	v_fma_f16 v254, v167, 0xb8d2, -v253
	v_fmac_f16_e64 v253, 0xb8d2, v167
	v_add_f16_e64 v17, v254, v28
	v_mul_f16_e64 v254, 0xb836, v153
	v_mov_b32_e32 v28, v33
	s_delay_alu instid0(VALU_DEP_4) | instskip(NEXT) | instid1(VALU_DEP_3)
	v_add_f16_e64 v23, v253, v23
	v_fma_f16 v255, 0xbacd, v174, v254
	s_delay_alu instid0(VALU_DEP_1) | instskip(SKIP_1) | instid1(VALU_DEP_1)
	v_add_f16_e64 v249, v255, v249
	v_mul_f16_e64 v255, 0x3bf7, v157
	v_fma_f16 v0, 0x2de8, v175, v255
	s_delay_alu instid0(VALU_DEP_1) | instskip(SKIP_1) | instid1(VALU_DEP_1)
	v_add_f16_e64 v0, v0, v249
	v_mul_f16_e64 v249, 0x3bb2, v179
	v_fma_f16 v31, v141, 0xb461, -v249
	v_fmac_f16_e64 v249, 0xb461, v141
	s_delay_alu instid0(VALU_DEP_2) | instskip(SKIP_1) | instid1(VALU_DEP_3)
	v_add_f16_e32 v27, v31, v27
	v_mul_f16_e64 v31, 0xb964, v162
	v_add_f16_e64 v24, v249, v24
	s_delay_alu instid0(VALU_DEP_2) | instskip(SKIP_1) | instid1(VALU_DEP_2)
	v_fma_f16 v32, 0x39e9, v176, v31
	v_fma_f16 v31, v176, 0x39e9, -v31
	v_add_f16_e32 v0, v32, v0
	v_mul_f16_e64 v32, 0xb5c8, v180
	s_delay_alu instid0(VALU_DEP_1) | instskip(SKIP_1) | instid1(VALU_DEP_2)
	v_fma_f16 v35, v147, 0x3b76, -v32
	v_fmac_f16_e64 v32, 0x3b76, v147
	v_add_f16_e32 v27, v35, v27
	v_mul_f16_e64 v35, 0xb1e1, v168
	s_delay_alu instid0(VALU_DEP_3) | instskip(NEXT) | instid1(VALU_DEP_2)
	v_add_f16_e32 v24, v32, v24
	v_fma_f16 v33, 0xbbdd, v177, v35
	v_fma_f16 v35, v177, 0xbbdd, -v35
	s_delay_alu instid0(VALU_DEP_2) | instskip(SKIP_1) | instid1(VALU_DEP_1)
	v_add_f16_e32 v0, v33, v0
	v_mul_f16_e64 v33, 0xb836, v181
	v_fma_f16 v58, v151, 0xbacd, -v33
	v_fmac_f16_e64 v33, 0xbacd, v151
	s_delay_alu instid0(VALU_DEP_2) | instskip(SKIP_1) | instid1(VALU_DEP_3)
	v_add_f16_e32 v27, v58, v27
	v_mul_f16_e64 v58, 0x3b29, v172
	v_add_f16_e32 v24, v33, v24
	v_fma_f16 v33, v166, 0xbacd, -v234
	s_delay_alu instid0(VALU_DEP_3) | instskip(SKIP_1) | instid1(VALU_DEP_2)
	v_fma_f16 v45, 0x3722, v178, v58
	v_fma_f16 v32, v178, 0x3722, -v58
	v_add_f16_e32 v0, v45, v0
	v_mul_f16_e64 v45, 0x3bf7, v182
	scratch_store_b32 off, v17, off offset:64 ; 4-byte Folded Spill
	v_mov_b32_e32 v17, v53
	scratch_store_b32 off, v0, off offset:68 ; 4-byte Folded Spill
	v_fma_f16 v46, v155, 0x2de8, -v45
	v_fmac_f16_e64 v45, 0x2de8, v155
	s_delay_alu instid0(VALU_DEP_2) | instskip(SKIP_1) | instid1(VALU_DEP_3)
	v_add_f16_e32 v27, v46, v27
	v_mul_f16_e64 v46, 0xb964, v183
	v_add_f16_e32 v24, v45, v24
	v_fma_f16 v45, v166, 0xb8d2, -v204
	s_delay_alu instid0(VALU_DEP_3) | instskip(SKIP_1) | instid1(VALU_DEP_2)
	v_fma_f16 v47, v159, 0x39e9, -v46
	v_fmac_f16_e64 v46, 0x39e9, v159
	v_add_f16_e32 v27, v47, v27
	v_mul_f16_e64 v47, 0xb836, v142
	s_delay_alu instid0(VALU_DEP_3) | instskip(SKIP_1) | instid1(VALU_DEP_3)
	v_add_f16_e32 v24, v46, v24
	v_fma_f16 v46, v161, 0x39e9, -v186
	v_fma_f16 v48, 0xbacd, v161, v47
	v_fma_f16 v47, v161, 0xbacd, -v47
	s_delay_alu instid0(VALU_DEP_3) | instskip(NEXT) | instid1(VALU_DEP_3)
	v_add_f16_e64 v46, v134, v46
	v_add_f16_e64 v48, v134, v48
	s_delay_alu instid0(VALU_DEP_3) | instskip(NEXT) | instid1(VALU_DEP_2)
	v_add_f16_e64 v47, v134, v47
	v_add_f16_e32 v48, v50, v48
	v_mul_f16_e64 v50, 0xb1e1, v185
	s_delay_alu instid0(VALU_DEP_3) | instskip(SKIP_1) | instid1(VALU_DEP_3)
	v_add_f16_e32 v47, v49, v47
	v_mul_f16_e64 v49, 0x3bf7, v184
	v_fma_f16 v51, v164, 0xbbdd, -v50
	v_fmac_f16_e64 v50, 0xbbdd, v164
	s_delay_alu instid0(VALU_DEP_2) | instskip(SKIP_1) | instid1(VALU_DEP_3)
	v_add_f16_e32 v27, v51, v27
	v_mul_f16_e64 v51, 0xbbf7, v149
	v_add_f16_e32 v24, v50, v24
	v_fma_f16 v50, v177, 0x2de8, -v211
	s_delay_alu instid0(VALU_DEP_3) | instskip(SKIP_1) | instid1(VALU_DEP_2)
	v_fma_f16 v52, 0x2de8, v171, v51
	v_fma_f16 v51, v171, 0x2de8, -v51
	v_add_f16_e32 v48, v52, v48
	v_mul_f16_e64 v52, 0x3b29, v184
	s_delay_alu instid0(VALU_DEP_3) | instskip(NEXT) | instid1(VALU_DEP_2)
	v_add_f16_e32 v47, v51, v47
	v_fma_f16 v67, v167, 0x3722, -v52
	v_fmac_f16_e64 v52, 0x3722, v167
	s_delay_alu instid0(VALU_DEP_2) | instskip(SKIP_2) | instid1(VALU_DEP_4)
	v_add_f16_e32 v0, v67, v27
	v_mul_f16_e64 v67, 0x3a62, v153
	v_mov_b32_e32 v27, v54
	v_add_f16_e32 v24, v52, v24
	v_add_f16_e64 v52, v131, v134
	scratch_store_b32 off, v0, off offset:72 ; 4-byte Folded Spill
	v_fma_f16 v68, 0xb8d2, v174, v67
	v_fma_f16 v51, v174, 0xb8d2, -v67
	v_mov_b32_e32 v67, v119
	v_add_f16_e64 v52, v138, v52
	v_mov_b32_e32 v119, v146
	v_add_f16_e32 v48, v68, v48
	v_mul_f16_e64 v68, 0xb5c8, v157
	v_add_f16_e32 v47, v51, v47
	v_add_f16_e64 v52, v130, v52
	s_delay_alu instid0(VALU_DEP_3) | instskip(SKIP_2) | instid1(VALU_DEP_3)
	v_fma_f16 v69, 0x3b76, v175, v68
	v_fma_f16 v51, v175, 0x3b76, -v68
	v_mov_b32_e32 v68, v163
	v_add_f16_e32 v48, v69, v48
	v_mul_f16_e64 v69, 0x3b29, v179
	s_delay_alu instid0(VALU_DEP_4) | instskip(SKIP_1) | instid1(VALU_DEP_3)
	v_add_f16_e32 v47, v51, v47
	v_fma_f16 v51, v161, 0xb8d2, -v248
	v_fma_f16 v70, v141, 0x3722, -v69
	v_fmac_f16_e64 v69, 0x3722, v141
	s_delay_alu instid0(VALU_DEP_3) | instskip(NEXT) | instid1(VALU_DEP_3)
	v_add_f16_e64 v51, v134, v51
	v_add_f16_e32 v26, v70, v26
	v_mul_f16_e64 v70, 0xb1e1, v162
	s_delay_alu instid0(VALU_DEP_4) | instskip(SKIP_1) | instid1(VALU_DEP_3)
	v_add_f16_e32 v22, v69, v22
	v_mov_b32_e32 v69, v120
	v_fma_f16 v71, 0xbbdd, v176, v70
	s_delay_alu instid0(VALU_DEP_1) | instskip(SKIP_1) | instid1(VALU_DEP_1)
	v_add_f16_e32 v48, v71, v48
	v_mul_f16_e64 v71, 0xbbf7, v180
	v_fma_f16 v72, v147, 0x2de8, -v71
	v_fmac_f16_e64 v71, 0x2de8, v147
	s_delay_alu instid0(VALU_DEP_2) | instskip(SKIP_1) | instid1(VALU_DEP_3)
	v_add_f16_e32 v26, v72, v26
	v_mul_f16_e64 v72, 0x3964, v168
	v_add_f16_e32 v22, v71, v22
	v_mov_b32_e32 v71, v169
	s_delay_alu instid0(VALU_DEP_3) | instskip(NEXT) | instid1(VALU_DEP_1)
	v_fma_f16 v53, 0x39e9, v177, v72
	v_add_f16_e32 v48, v53, v48
	v_mul_f16_e64 v53, 0x3a62, v181
	s_delay_alu instid0(VALU_DEP_1) | instskip(SKIP_1) | instid1(VALU_DEP_2)
	v_fma_f16 v54, v151, 0xb8d2, -v53
	v_fmac_f16_e64 v53, 0xb8d2, v151
	v_add_f16_e32 v26, v54, v26
	v_mul_f16_e64 v54, 0xbbb2, v172
	s_delay_alu instid0(VALU_DEP_3) | instskip(SKIP_1) | instid1(VALU_DEP_3)
	v_add_f16_e32 v22, v53, v22
	v_fma_f16 v53, v171, 0x3b76, -v252
	v_fma_f16 v55, 0xb461, v178, v54
	s_delay_alu instid0(VALU_DEP_1)
	v_add_f16_e32 v0, v55, v48
	v_mul_f16_e64 v55, 0xb5c8, v182
	v_mov_b32_e32 v48, v114
	v_mov_b32_e32 v114, v59
	;; [unrolled: 1-line block ×3, first 2 shown]
	scratch_store_b32 off, v0, off offset:76 ; 4-byte Folded Spill
	v_fma_f16 v56, v155, 0x3b76, -v55
	v_mov_b32_e32 v0, v84
	v_fmac_f16_e64 v55, 0x3b76, v155
	v_dual_mov_b32 v109, v14 :: v_dual_mov_b32 v120, v143
	s_delay_alu instid0(VALU_DEP_4) | instskip(SKIP_1) | instid1(VALU_DEP_4)
	v_add_f16_e32 v26, v56, v26
	v_mul_f16_e64 v56, 0xb1e1, v183
	v_add_f16_e32 v22, v55, v22
	v_mul_f16_e64 v55, 0x39e9, v141
	s_delay_alu instid0(VALU_DEP_3) | instskip(SKIP_1) | instid1(VALU_DEP_2)
	v_fma_f16 v57, v159, 0xbbdd, -v56
	v_fmac_f16_e64 v56, 0xbbdd, v159
	v_add_f16_e32 v26, v57, v26
	v_mul_f16_e64 v57, 0xb1e1, v142
	s_delay_alu instid0(VALU_DEP_3) | instskip(SKIP_1) | instid1(VALU_DEP_3)
	v_add_f16_e32 v22, v56, v22
	v_mov_b32_e32 v56, v156
	v_fma_f16 v59, 0xbbdd, v161, v57
	v_fma_f16 v57, v161, 0xbbdd, -v57
	s_delay_alu instid0(VALU_DEP_2) | instskip(NEXT) | instid1(VALU_DEP_2)
	v_add_f16_e64 v59, v134, v59
	v_add_f16_e64 v57, v134, v57
	s_delay_alu instid0(VALU_DEP_2) | instskip(SKIP_1) | instid1(VALU_DEP_3)
	v_add_f16_e32 v59, v61, v59
	v_mul_f16_e64 v61, 0x3964, v185
	v_add_f16_e32 v57, v60, v57
	s_delay_alu instid0(VALU_DEP_2) | instskip(SKIP_1) | instid1(VALU_DEP_2)
	v_fma_f16 v62, v164, 0x39e9, -v61
	v_fmac_f16_e64 v61, 0x39e9, v164
	v_add_f16_e32 v26, v62, v26
	v_mul_f16_e64 v62, 0xb836, v149
	s_delay_alu instid0(VALU_DEP_3) | instskip(SKIP_1) | instid1(VALU_DEP_3)
	v_add_f16_e32 v22, v61, v22
	v_mov_b32_e32 v61, v191
	v_fma_f16 v63, 0xbacd, v171, v62
	v_fma_f16 v60, v171, 0xbacd, -v62
	v_mul_f16_e64 v62, 0x3b29, v183
	s_delay_alu instid0(VALU_DEP_3) | instskip(SKIP_1) | instid1(VALU_DEP_4)
	v_add_f16_e32 v59, v63, v59
	v_mul_f16_e64 v63, 0xbbb2, v184
	v_add_f16_e32 v57, v60, v57
	s_delay_alu instid0(VALU_DEP_2) | instskip(SKIP_1) | instid1(VALU_DEP_2)
	v_fma_f16 v64, v167, 0xb461, -v63
	v_fmac_f16_e64 v63, 0xb461, v167
	v_add_f16_e32 v26, v64, v26
	v_mul_f16_e64 v64, 0x3964, v153
	s_delay_alu instid0(VALU_DEP_3) | instskip(SKIP_1) | instid1(VALU_DEP_3)
	v_add_f16_e32 v22, v63, v22
	v_mov_b32_e32 v63, v144
	v_fma_f16 v65, 0x39e9, v174, v64
	v_fma_f16 v64, v174, 0x39e9, -v64
	s_delay_alu instid0(VALU_DEP_2) | instskip(SKIP_1) | instid1(VALU_DEP_3)
	v_add_f16_e32 v59, v65, v59
	v_mul_f16_e64 v65, 0xba62, v157
	v_add_f16_e32 v57, v64, v57
	s_delay_alu instid0(VALU_DEP_2) | instskip(NEXT) | instid1(VALU_DEP_1)
	v_fma_f16 v66, 0xb8d2, v175, v65
	v_add_f16_e32 v59, v66, v59
	v_mul_f16_e64 v66, 0x35c8, v179
	s_delay_alu instid0(VALU_DEP_1) | instskip(SKIP_1) | instid1(VALU_DEP_2)
	v_fma_f16 v179, v141, 0x3b76, -v66
	v_fmac_f16_e64 v66, 0x3b76, v141
	v_add_f16_e64 v25, v179, v25
	v_mul_f16_e64 v179, 0x3b29, v162
	s_delay_alu instid0(VALU_DEP_3) | instskip(SKIP_4) | instid1(VALU_DEP_1)
	v_add_f16_e32 v60, v66, v87
	v_fma_f16 v66, v159, 0x3722, -v62
	v_fmac_f16_e64 v62, 0x3722, v159
	v_lshrrev_b32_e32 v87, 16, v7
	v_fma_f16 v1, 0x3722, v176, v179
	v_add_f16_e32 v1, v1, v59
	v_mul_f16_e64 v59, 0xb836, v180
	s_delay_alu instid0(VALU_DEP_1) | instskip(SKIP_1) | instid1(VALU_DEP_2)
	v_fma_f16 v180, v147, 0xbacd, -v59
	v_fmac_f16_e64 v59, 0xbacd, v147
	v_add_f16_e64 v25, v180, v25
	v_mul_f16_e64 v180, 0xbbb2, v168
	s_delay_alu instid0(VALU_DEP_3) | instskip(SKIP_1) | instid1(VALU_DEP_3)
	v_add_f16_e32 v59, v59, v60
	v_mul_f16_e64 v60, 0xbbb2, v185
	v_fma_f16 v81, 0xb461, v177, v180
	s_delay_alu instid0(VALU_DEP_2) | instskip(SKIP_1) | instid1(VALU_DEP_3)
	v_fma_f16 v64, v164, 0xb461, -v60
	v_fmac_f16_e64 v60, 0xb461, v164
	v_add_f16_e32 v1, v81, v1
	v_mul_f16_e64 v81, 0x3964, v181
	s_delay_alu instid0(VALU_DEP_1) | instskip(SKIP_1) | instid1(VALU_DEP_2)
	v_fma_f16 v181, v151, 0x39e9, -v81
	v_fmac_f16_e64 v81, 0x39e9, v151
	v_add_f16_e64 v25, v181, v25
	v_mul_f16_e64 v181, 0x3bf7, v172
	s_delay_alu instid0(VALU_DEP_3) | instskip(SKIP_1) | instid1(VALU_DEP_3)
	v_add_f16_e32 v59, v81, v59
	v_mov_b32_e32 v81, v173
	v_fma_f16 v84, 0x2de8, v178, v181
	s_delay_alu instid0(VALU_DEP_1) | instskip(SKIP_1) | instid1(VALU_DEP_1)
	v_add_f16_e32 v1, v84, v1
	v_mul_f16_e64 v84, 0xba62, v182
	v_fma_f16 v182, v155, 0xb8d2, -v84
	v_fmac_f16_e64 v84, 0xb8d2, v155
	s_delay_alu instid0(VALU_DEP_2) | instskip(NEXT) | instid1(VALU_DEP_2)
	v_add_f16_e64 v25, v182, v25
	v_add_f16_e32 v59, v84, v59
	v_mov_b32_e32 v84, v0
	scratch_load_b32 v0, off, off offset:52 th:TH_LOAD_LU ; 4-byte Folded Reload
	v_add_f16_e32 v25, v66, v25
	v_add_f16_e32 v59, v62, v59
	v_fma_f16 v62, v167, 0x2de8, -v49
	v_fmac_f16_e64 v49, 0x2de8, v167
	s_delay_alu instid0(VALU_DEP_4) | instskip(NEXT) | instid1(VALU_DEP_4)
	v_add_f16_e32 v25, v64, v25
	v_add_f16_e32 v59, v60, v59
	v_fma_f16 v60, v166, 0xb461, -v250
	v_fma_f16 v64, v175, 0xb8d2, -v65
	v_mov_b32_e32 v65, v154
	v_add_f16_e32 v25, v62, v25
	v_fma_f16 v62, v178, 0x2de8, -v181
	v_add_f16_e32 v51, v60, v51
	v_fma_f16 v60, v176, 0xbbdd, -v70
	;; [unrolled: 2-line block ×3, first 2 shown]
	v_mov_b32_e32 v66, v160
	v_add_f16_e32 v51, v53, v51
	v_add_f16_e32 v47, v60, v47
	v_fma_f16 v53, v177, 0x39e9, -v72
	v_mov_b32_e32 v60, v93
	v_add_f16_e32 v57, v64, v57
	v_fma_f16 v64, v177, 0xb461, -v180
	v_mov_b32_e32 v93, v92
	v_add_f16_e32 v47, v53, v47
	v_fma_f16 v53, v174, 0xbacd, -v254
	v_mov_b32_e32 v92, v96
	v_add_f16_e32 v57, v64, v57
	v_mov_b32_e32 v96, v112
	v_mov_b32_e32 v112, v122
	v_add_f16_e32 v51, v53, v51
	v_fma_f16 v53, v178, 0xb461, -v54
	v_mul_f16_e64 v54, 0xb964, v145
	v_add_f16_e32 v57, v62, v57
	v_mov_b32_e32 v62, v139
	v_mov_b32_e32 v64, v158
	v_add_f16_e32 v47, v53, v47
	v_fma_f16 v53, v175, 0x2de8, -v255
	v_sub_f16_e32 v54, v28, v54
	v_mov_b32_e32 v70, v165
	v_mov_b32_e32 v72, v170
	v_pack_b32_f16 v22, v22, v47
	v_add_f16_e32 v51, v53, v51
	v_mul_f16_e64 v53, 0xb5c8, v142
	v_pack_b32_f16 v1, v25, v1
	s_delay_alu instid0(VALU_DEP_3) | instskip(SKIP_1) | instid1(VALU_DEP_4)
	v_add_f16_e32 v31, v31, v51
	v_fma_f16 v51, v178, 0xbacd, -v213
	v_sub_f16_e64 v53, v217, v53
	s_delay_alu instid0(VALU_DEP_3) | instskip(SKIP_1) | instid1(VALU_DEP_3)
	v_add_f16_e32 v31, v35, v31
	v_fma_f16 v35, v166, 0xbbdd, -v218
	v_add_f16_e64 v53, v134, v53
	s_delay_alu instid0(VALU_DEP_3) | instskip(SKIP_1) | instid1(VALU_DEP_3)
	v_add_f16_e32 v31, v32, v31
	v_fma_f16 v32, v161, 0xb461, -v232
	v_add_f16_e32 v53, v54, v53
	v_mul_f16_e64 v54, 0xbb29, v149
	v_mov_b32_e32 v232, v107
	v_pack_b32_f16 v24, v24, v31
	v_add_f16_e64 v32, v134, v32
	v_add_f16_e32 v31, v49, v59
	v_sub_f16_e32 v54, v29, v54
	v_mov_b32_e32 v107, v190
	v_mov_b32_e32 v59, v114
	v_add_f16_e32 v32, v33, v32
	v_fma_f16 v33, v171, 0x39e9, -v236
	v_add_f16_e32 v53, v54, v53
	v_mul_f16_e64 v54, 0xbbf7, v153
	v_mov_b32_e32 v236, v150
	v_mov_b32_e32 v114, v48
	v_add_f16_e32 v32, v33, v32
	v_fma_f16 v33, v174, 0x3722, -v238
	v_sub_f16_e64 v54, v189, v54
	v_dual_mov_b32 v238, v113 :: v_dual_mov_b32 v113, v15
	s_delay_alu instid0(VALU_DEP_3) | instskip(SKIP_1) | instid1(VALU_DEP_4)
	v_add_f16_e32 v32, v33, v32
	v_fma_f16 v33, v175, 0xbbdd, -v239
	v_add_f16_e32 v53, v54, v53
	v_mul_f16_e64 v54, 0xbbb2, v157
	v_mov_b32_e32 v239, v115
	v_mov_b32_e32 v115, v16
	v_add_f16_e32 v32, v33, v32
	v_fma_f16 v33, v176, 0x2de8, -v241
	v_sub_f16_e64 v54, v233, v54
	s_delay_alu instid0(VALU_DEP_2) | instskip(SKIP_1) | instid1(VALU_DEP_3)
	v_add_f16_e32 v32, v33, v32
	v_fma_f16 v33, v177, 0x3b76, -v243
	v_add_f16_e32 v53, v54, v53
	v_mul_f16_e64 v54, 0xba62, v162
	s_delay_alu instid0(VALU_DEP_3) | instskip(SKIP_1) | instid1(VALU_DEP_1)
	v_add_f16_e32 v32, v33, v32
	v_fma_f16 v33, v161, 0x2de8, -v216
	v_add_f16_e64 v33, v134, v33
	s_delay_alu instid0(VALU_DEP_1) | instskip(SKIP_1) | instid1(VALU_DEP_1)
	v_add_f16_e32 v33, v35, v33
	v_fma_f16 v35, v178, 0xb8d2, -v245
	v_add_f16_e32 v32, v35, v32
	v_fma_f16 v35, v171, 0xb461, -v220
	s_delay_alu instid0(VALU_DEP_2) | instskip(NEXT) | instid1(VALU_DEP_2)
	v_pack_b32_f16 v23, v23, v32
	v_add_f16_e32 v33, v35, v33
	v_fma_f16 v35, v174, 0x3b76, -v222
	s_delay_alu instid0(VALU_DEP_1) | instskip(SKIP_2) | instid1(VALU_DEP_2)
	v_add_f16_e32 v33, v35, v33
	v_fma_f16 v35, v175, 0x3722, -v223
	v_or_b32_e32 v223, 0x300, v34
	v_add_f16_e32 v33, v35, v33
	v_fma_f16 v35, v161, 0x3722, -v203
	s_delay_alu instid0(VALU_DEP_1) | instskip(NEXT) | instid1(VALU_DEP_1)
	v_add_f16_e64 v35, v134, v35
	v_add_f16_e32 v35, v45, v35
	v_fma_f16 v45, v176, 0xbacd, -v225
	v_or_b32_e32 v225, 0x180, v34
	s_delay_alu instid0(VALU_DEP_2) | instskip(SKIP_1) | instid1(VALU_DEP_1)
	v_add_f16_e32 v33, v45, v33
	v_fma_f16 v45, v171, 0xbbdd, -v206
	v_add_f16_e32 v35, v45, v35
	v_fma_f16 v45, v177, 0xb8d2, -v227
	v_mov_b32_e32 v227, v91
	v_lshrrev_b32_e32 v91, 16, v8
	s_delay_alu instid0(VALU_DEP_3) | instskip(SKIP_1) | instid1(VALU_DEP_1)
	v_add_f16_e32 v33, v45, v33
	v_fma_f16 v45, v174, 0xb461, -v207
	v_add_f16_e32 v35, v45, v35
	v_fma_f16 v45, v178, 0x39e9, -v229
	s_delay_alu instid0(VALU_DEP_1) | instskip(SKIP_1) | instid1(VALU_DEP_2)
	v_add_f16_e32 v33, v45, v33
	v_fma_f16 v45, v175, 0x39e9, -v208
	v_pack_b32_f16 v21, v21, v33
	s_delay_alu instid0(VALU_DEP_2) | instskip(SKIP_1) | instid1(VALU_DEP_1)
	v_add_f16_e32 v35, v45, v35
	v_fma_f16 v45, v176, 0x3b76, -v188
	v_add_f16_e32 v35, v45, v35
	s_delay_alu instid0(VALU_DEP_1) | instskip(SKIP_1) | instid1(VALU_DEP_2)
	v_add_f16_e32 v35, v50, v35
	v_fma_f16 v50, v166, 0x2de8, -v192
	v_add_f16_e32 v35, v51, v35
	s_delay_alu instid0(VALU_DEP_2) | instskip(SKIP_1) | instid1(VALU_DEP_1)
	v_add_f16_e32 v46, v50, v46
	v_fma_f16 v50, v171, 0xb8d2, -v187
	v_add_f16_e32 v46, v50, v46
	v_fma_f16 v50, v174, 0xbbdd, -v194
	s_delay_alu instid0(VALU_DEP_1) | instskip(SKIP_1) | instid1(VALU_DEP_1)
	v_add_f16_e32 v46, v50, v46
	v_fma_f16 v50, v175, 0xbacd, -v195
	v_add_f16_e32 v46, v50, v46
	v_fma_f16 v50, v176, 0xb461, -v18
	s_delay_alu instid0(VALU_DEP_1) | instskip(SKIP_1) | instid1(VALU_DEP_1)
	v_add_f16_e32 v46, v50, v46
	v_fma_f16 v50, v177, 0x3722, -v198
	v_add_f16_e32 v46, v50, v46
	s_wait_loadcnt 0x0
	v_add_f16_e64 v45, v209, v0
	scratch_load_b32 v0, off, off offset:44 th:TH_LOAD_LU ; 4-byte Folded Reload
	v_add_f16_e64 v45, v210, v45
	s_delay_alu instid0(VALU_DEP_1) | instskip(NEXT) | instid1(VALU_DEP_1)
	v_add_f16_e64 v45, v212, v45
	v_add_f16_e64 v45, v214, v45
	s_delay_alu instid0(VALU_DEP_1) | instskip(NEXT) | instid1(VALU_DEP_1)
	v_add_f16_e64 v45, v215, v45
	;; [unrolled: 3-line block ×3, first 2 shown]
	v_pack_b32_f16 v35, v45, v35
	s_wait_loadcnt 0x0
	v_add_f16_e64 v51, v193, v0
	scratch_load_b32 v0, off, off offset:96 th:TH_LOAD_LU ; 4-byte Folded Reload
	v_add_f16_e64 v51, v197, v51
	s_delay_alu instid0(VALU_DEP_1) | instskip(NEXT) | instid1(VALU_DEP_1)
	v_add_f16_e64 v51, v199, v51
	v_add_f16_e64 v51, v201, v51
	s_delay_alu instid0(VALU_DEP_1) | instskip(SKIP_2) | instid1(VALU_DEP_3)
	v_add_f16_e64 v50, v202, v51
	v_add_f16_e64 v51, v137, v52
	v_fma_f16 v52, v178, 0x3b76, -v140
	v_add_f16_e64 v50, v205, v50
	s_delay_alu instid0(VALU_DEP_3) | instskip(NEXT) | instid1(VALU_DEP_3)
	v_add_f16_e64 v51, v129, v51
	v_add_f16_e32 v46, v52, v46
	s_delay_alu instid0(VALU_DEP_3) | instskip(NEXT) | instid1(VALU_DEP_3)
	v_add_f16_e32 v19, v19, v50
	v_add_f16_e64 v51, v136, v51
	s_delay_alu instid0(VALU_DEP_2) | instskip(NEXT) | instid1(VALU_DEP_2)
	v_pack_b32_f16 v19, v19, v46
	v_add_f16_e64 v51, v128, v51
	s_delay_alu instid0(VALU_DEP_1) | instskip(NEXT) | instid1(VALU_DEP_1)
	v_add_f16_e64 v51, v135, v51
	v_add_f16_e32 v51, v126, v51
	s_delay_alu instid0(VALU_DEP_1) | instskip(NEXT) | instid1(VALU_DEP_1)
	v_add_f16_e64 v51, v133, v51
	v_add_f16_e32 v51, v125, v51
	;; [unrolled: 3-line block ×3, first 2 shown]
	s_delay_alu instid0(VALU_DEP_1) | instskip(NEXT) | instid1(VALU_DEP_1)
	v_add_f16_e32 v51, v127, v51
	v_add_f16_e32 v51, v123, v51
	s_delay_alu instid0(VALU_DEP_1)
	v_add_f16_e64 v51, v152, v51
	s_wait_loadcnt 0x0
	v_add_f16_e32 v55, v55, v0
	scratch_load_b32 v0, off, off offset:32 th:TH_LOAD_LU ; 4-byte Folded Reload
	s_wait_loadcnt 0x0
	v_add_f16_e32 v18, v55, v0
	scratch_load_b32 v0, off, off offset:88 th:TH_LOAD_LU ; 4-byte Folded Reload
	v_mul_f16_e64 v55, 0x3722, v147
	s_wait_loadcnt 0x0
	s_delay_alu instid0(VALU_DEP_1) | instskip(SKIP_4) | instid1(VALU_DEP_1)
	v_add_f16_e32 v55, v55, v0
	scratch_load_b32 v0, off, off offset:100 th:TH_LOAD_LU ; 4-byte Folded Reload
	v_add_f16_e32 v18, v55, v18
	v_mul_f16_e64 v55, 0x2de8, v151
	s_wait_loadcnt 0x0
	v_add_f16_e32 v55, v55, v0
	scratch_load_b32 v0, off, off offset:92 th:TH_LOAD_LU ; 4-byte Folded Reload
	v_add_f16_e32 v18, v55, v18
	v_mul_f16_e64 v55, 0xb461, v155
	s_wait_loadcnt 0x0
	s_delay_alu instid0(VALU_DEP_1)
	v_add_f16_e32 v55, v55, v0
	scratch_load_b32 v0, off, off offset:104 th:TH_LOAD_LU ; 4-byte Folded Reload
	v_add_f16_e32 v18, v55, v18
	v_mul_f16_e64 v55, 0xb8d2, v159
	s_wait_loadcnt 0x0
	v_sub_f16_e32 v54, v0, v54
	scratch_load_b32 v0, off, off offset:84 th:TH_LOAD_LU ; 4-byte Folded Reload
	v_add_f16_e32 v53, v54, v53
	v_mul_f16_e64 v54, 0xb836, v168
	s_delay_alu instid0(VALU_DEP_1) | instskip(NEXT) | instid1(VALU_DEP_1)
	v_sub_f16_e32 v54, v17, v54
	v_add_f16_e32 v53, v54, v53
	v_mul_f16_e64 v54, 0xb1e1, v172
	s_delay_alu instid0(VALU_DEP_1) | instskip(NEXT) | instid1(VALU_DEP_1)
	v_sub_f16_e32 v54, v20, v54
	v_add_f16_e32 v53, v54, v53
	s_wait_loadcnt 0x0
	v_add_f16_e32 v55, v55, v0
	scratch_load_b32 v0, off, off offset:80 th:TH_LOAD_LU ; 4-byte Folded Reload
	v_add_f16_e32 v18, v55, v18
	v_mul_f16_e64 v55, 0xbacd, v164
	s_wait_loadcnt 0x0
	s_delay_alu instid0(VALU_DEP_1) | instskip(SKIP_1) | instid1(VALU_DEP_2)
	v_add_f16_e32 v55, v55, v0
	v_mul_lo_u16 v0, v34, 17
	v_add_f16_e32 v18, v55, v18
	s_delay_alu instid0(VALU_DEP_2)
	v_and_b32_e32 v54, 0xffff, v0
	scratch_load_b32 v0, off, off offset:20 th:TH_LOAD_LU ; 4-byte Folded Reload
	v_mul_f16_e64 v55, 0xbbdd, v167
	scratch_load_b32 v229, off, off offset:4 ; 4-byte Folded Reload
	v_lshlrev_b32_e32 v50, 2, v54
	v_add_f16_e32 v55, v55, v27
	s_delay_alu instid0(VALU_DEP_1) | instskip(NEXT) | instid1(VALU_DEP_1)
	v_add_f16_e32 v18, v55, v18
	v_pack_b32_f16 v18, v18, v53
	s_wait_loadcnt 0x1
	v_add_f16_e32 v14, v121, v0
	s_delay_alu instid0(VALU_DEP_1)
	v_pack_b32_f16 v14, v14, v51
	ds_store_2addr_b32 v50, v14, v18 offset1:1
	ds_store_2addr_b32 v50, v19, v35 offset0:2 offset1:3
	ds_store_2addr_b32 v50, v21, v23 offset0:4 offset1:5
	;; [unrolled: 1-line block ×3, first 2 shown]
	s_clause 0x1
	scratch_load_b32 v0, off, off offset:68 th:TH_LOAD_LU
	scratch_load_b32 v15, off, off offset:72 th:TH_LOAD_LU
	v_pack_b32_f16 v14, v31, v57
	s_wait_loadcnt 0x0
	v_pack_b32_f16 v0, v15, v0
	scratch_load_b32 v15, off, off offset:76 th:TH_LOAD_LU ; 4-byte Folded Reload
	s_wait_loadcnt 0x0
	v_pack_b32_f16 v18, v26, v15
	s_clause 0x1
	scratch_load_b32 v15, off, off offset:48 th:TH_LOAD_LU
	scratch_load_b32 v16, off, off offset:56 th:TH_LOAD_LU
	s_wait_loadcnt 0x0
	v_pack_b32_f16 v19, v16, v15
	s_clause 0x1
	scratch_load_b32 v15, off, off offset:60 th:TH_LOAD_LU
	scratch_load_b32 v16, off, off offset:64 th:TH_LOAD_LU
	s_wait_loadcnt 0x0
	v_pack_b32_f16 v21, v16, v15
	s_clause 0x2
	scratch_load_b32 v233, off, off
	scratch_load_b32 v15, off, off offset:24 th:TH_LOAD_LU
	scratch_load_b32 v16, off, off offset:28 th:TH_LOAD_LU
	s_wait_loadcnt 0x0
	v_pack_b32_f16 v15, v16, v15
	s_clause 0x1
	scratch_load_b32 v16, off, off offset:36 th:TH_LOAD_LU
	scratch_load_b32 v17, off, off offset:40 th:TH_LOAD_LU
	s_wait_loadcnt 0x0
	v_pack_b32_f16 v16, v17, v16
	v_perm_b32 v17, v200, v196, 0x5040100
	ds_store_2addr_b32 v50, v14, v1 offset0:8 offset1:9
	ds_store_2addr_b32 v50, v18, v0 offset0:10 offset1:11
	;; [unrolled: 1-line block ×4, first 2 shown]
	ds_store_b32 v50, v17 offset:64
.LBB0_17:
	s_wait_alu 0xfffe
	s_or_b32 exec_lo, exec_lo, s1
	v_add_nc_u32_e32 v0, 0x400, v36
	v_add_nc_u32_e32 v1, 0x600, v36
	;; [unrolled: 1-line block ×3, first 2 shown]
	global_wb scope:SCOPE_SE
	s_wait_storecnt_dscnt 0x0
	s_barrier_signal -1
	s_barrier_wait -1
	global_inv scope:SCOPE_SE
	ds_load_2addr_b32 v[14:15], v36 offset1:51
	ds_load_2addr_b32 v[16:17], v36 offset0:102 offset1:153
	ds_load_2addr_b32 v[18:19], v36 offset0:204 offset1:255
	;; [unrolled: 1-line block ×7, first 2 shown]
	global_wb scope:SCOPE_SE
	s_wait_dscnt 0x0
	s_barrier_signal -1
	s_barrier_wait -1
	global_inv scope:SCOPE_SE
	v_lshrrev_b32_e32 v47, 16, v20
	v_lshrrev_b32_e32 v48, 16, v21
	;; [unrolled: 1-line block ×3, first 2 shown]
	v_mul_f16_e32 v54, v56, v20
	v_lshrrev_b32_e32 v50, 16, v23
	v_mul_f16_e32 v56, v56, v47
	v_lshrrev_b32_e32 v51, 16, v24
	v_lshrrev_b32_e32 v52, 16, v25
	v_fma_f16 v47, v44, v47, -v54
	v_mul_f16_e64 v54, v239, v48
	v_fmac_f16_e32 v56, v44, v20
	v_mul_f16_e32 v44, v59, v49
	v_mul_f16_e32 v59, v59, v22
	v_mul_f16_e64 v20, v239, v21
	v_fmac_f16_e32 v54, v43, v21
	v_mul_f16_e64 v21, v238, v50
	v_fmac_f16_e32 v44, v42, v22
	v_fma_f16 v22, v42, v49, -v59
	v_mul_f16_e64 v42, v238, v23
	v_lshrrev_b32_e32 v58, 16, v29
	v_fma_f16 v20, v43, v48, -v20
	v_fmac_f16_e32 v21, v41, v23
	v_mul_f16_e64 v23, v237, v51
	v_mul_f16_e64 v43, v237, v24
	;; [unrolled: 1-line block ×3, first 2 shown]
	v_fma_f16 v41, v41, v50, -v42
	v_mul_f16_e64 v42, v236, v25
	v_lshrrev_b32_e32 v55, 16, v28
	v_lshrrev_b32_e32 v1, 16, v14
	v_fmac_f16_e32 v23, v40, v24
	v_fma_f16 v24, v40, v51, -v43
	v_fmac_f16_e32 v48, v39, v25
	v_fma_f16 v39, v39, v52, -v42
	v_mul_f16_e64 v42, v234, v58
	v_mul_f16_e64 v43, v234, v29
	v_lshrrev_b32_e32 v32, 16, v15
	v_mul_f16_e64 v25, v235, v55
	v_mul_f16_e64 v40, v235, v28
	v_lshrrev_b32_e32 v33, 16, v16
	v_lshrrev_b32_e32 v45, 16, v18
	;; [unrolled: 1-line block ×3, first 2 shown]
	v_sub_f16_e32 v49, v14, v56
	v_fmac_f16_e32 v42, v37, v29
	v_fma_f16 v29, v37, v58, -v43
	v_sub_f16_e32 v37, v1, v47
	v_fmac_f16_e32 v25, v38, v28
	v_fma_f16 v28, v38, v55, -v40
	v_sub_f16_e32 v38, v15, v54
	v_sub_f16_e32 v20, v32, v20
	v_lshrrev_b32_e32 v46, 16, v19
	v_sub_f16_e32 v40, v16, v44
	v_sub_f16_e32 v22, v33, v22
	v_lshrrev_b32_e32 v53, 16, v26
	v_sub_f16_e32 v24, v45, v24
	v_lshrrev_b32_e32 v57, 16, v27
	v_fma_f16 v14, v14, 2.0, -v49
	v_fma_f16 v1, v1, 2.0, -v37
	v_sub_f16_e32 v21, v17, v21
	v_sub_f16_e32 v41, v35, v41
	v_fma_f16 v15, v15, 2.0, -v38
	v_fma_f16 v32, v32, 2.0, -v20
	v_sub_f16_e32 v23, v18, v23
	v_fma_f16 v16, v16, 2.0, -v40
	v_fma_f16 v33, v33, 2.0, -v22
	v_sub_f16_e32 v43, v19, v48
	v_sub_f16_e32 v39, v46, v39
	v_fma_f16 v44, v45, 2.0, -v24
	v_sub_f16_e32 v25, v26, v25
	v_sub_f16_e32 v45, v53, v28
	;; [unrolled: 1-line block ×4, first 2 shown]
	v_fma_f16 v17, v17, 2.0, -v21
	v_fma_f16 v35, v35, 2.0, -v41
	v_pack_b32_f16 v1, v14, v1
	v_pack_b32_f16 v14, v49, v37
	v_fma_f16 v18, v18, 2.0, -v23
	v_pack_b32_f16 v15, v15, v32
	v_pack_b32_f16 v20, v38, v20
	v_fma_f16 v19, v19, 2.0, -v43
	v_fma_f16 v42, v46, 2.0, -v39
	v_pack_b32_f16 v16, v16, v33
	v_pack_b32_f16 v22, v40, v22
	v_fma_f16 v26, v26, 2.0, -v25
	v_fma_f16 v46, v53, 2.0, -v45
	;; [unrolled: 1-line block ×4, first 2 shown]
	ds_store_2addr_b32 v231, v1, v14 offset1:17
	ds_store_2addr_b32 v232, v15, v20 offset1:17
	;; [unrolled: 1-line block ×3, first 2 shown]
	v_pack_b32_f16 v1, v17, v35
	v_pack_b32_f16 v14, v21, v41
	;; [unrolled: 1-line block ×10, first 2 shown]
	ds_store_2addr_b32 v60, v1, v14 offset1:17
	ds_store_2addr_b32 v61, v15, v16 offset1:17
	;; [unrolled: 1-line block ×5, first 2 shown]
	v_add_nc_u32_e32 v1, 0x200, v36
	global_wb scope:SCOPE_SE
	s_wait_dscnt 0x0
	s_barrier_signal -1
	s_barrier_wait -1
	global_inv scope:SCOPE_SE
	ds_load_2addr_b32 v[18:19], v36 offset1:51
	ds_load_2addr_b32 v[14:15], v1 offset0:76 offset1:144
	ds_load_2addr_b32 v[26:27], v31 offset0:32 offset1:83
	;; [unrolled: 1-line block ×6, first 2 shown]
	ds_load_b32 v35, v36 offset:2992
	s_and_saveexec_b32 s1, s0
	s_cbranch_execz .LBB0_19
; %bb.18:
	ds_load_b32 v28, v36 offset:1020
	ds_load_b32 v196, v36 offset:2108
	;; [unrolled: 1-line block ×3, first 2 shown]
	s_wait_dscnt 0x2
	v_lshrrev_b32_e32 v29, 16, v28
	s_wait_dscnt 0x1
	v_lshrrev_b32_e32 v200, 16, v196
	;; [unrolled: 2-line block ×3, first 2 shown]
.LBB0_19:
	s_wait_alu 0xfffe
	s_or_b32 exec_lo, exec_lo, s1
	s_wait_dscnt 0x6
	v_lshrrev_b32_e32 v1, 16, v15
	s_wait_dscnt 0x5
	v_lshrrev_b32_e32 v31, 16, v26
	;; [unrolled: 2-line block ×3, first 2 shown]
	v_mul_f16_e64 v47, v240, v15
	v_lshrrev_b32_e32 v37, 16, v27
	v_mul_f16_e64 v45, v240, v1
	v_mul_f16_e32 v49, v94, v31
	v_lshrrev_b32_e32 v39, 16, v25
	v_fma_f16 v1, v12, v1, -v47
	s_wait_dscnt 0x2
	v_lshrrev_b32_e32 v40, 16, v22
	v_fmac_f16_e32 v45, v12, v15
	v_mul_f16_e32 v15, v94, v26
	v_mul_f16_e32 v12, v92, v33
	v_fmac_f16_e32 v49, v13, v26
	v_mul_f16_e32 v26, v92, v24
	s_wait_dscnt 0x1
	v_lshrrev_b32_e32 v42, 16, v20
	v_fma_f16 v13, v13, v31, -v15
	v_mul_f16_e32 v15, v93, v37
	v_fmac_f16_e32 v12, v10, v24
	v_mul_f16_e32 v24, v93, v27
	v_fma_f16 v10, v10, v33, -v26
	v_mul_f16_e32 v26, v91, v39
	v_fmac_f16_e32 v15, v11, v27
	v_mul_f16_e32 v27, v91, v25
	v_fma_f16 v11, v11, v37, -v24
	v_mul_f16_e32 v24, v90, v40
	v_lshrrev_b32_e32 v43, 16, v23
	v_fmac_f16_e32 v26, v8, v25
	v_mul_f16_e32 v25, v90, v22
	v_lshrrev_b32_e32 v46, 16, v21
	v_fma_f16 v8, v8, v39, -v27
	v_mul_f16_e32 v27, v89, v42
	v_fmac_f16_e32 v24, v9, v22
	v_mul_f16_e32 v22, v89, v20
	v_fma_f16 v9, v9, v40, -v25
	v_mul_f16_e32 v25, v87, v43
	s_wait_dscnt 0x0
	v_lshrrev_b32_e32 v48, 16, v35
	v_fmac_f16_e32 v27, v6, v20
	v_mul_f16_e32 v20, v87, v23
	v_fma_f16 v6, v6, v42, -v22
	v_mul_f16_e32 v22, v84, v46
	v_fmac_f16_e32 v25, v7, v23
	v_mul_f16_e32 v23, v84, v21
	v_fma_f16 v7, v7, v43, -v20
	v_mul_f16_e32 v20, v81, v48
	v_fmac_f16_e32 v22, v4, v21
	v_mul_f16_e32 v21, v81, v35
	v_lshrrev_b32_e32 v0, 16, v18
	v_fma_f16 v4, v4, v46, -v23
	v_add_f16_e32 v23, v45, v49
	v_fmac_f16_e32 v20, v5, v35
	v_fma_f16 v5, v5, v48, -v21
	v_add_f16_e32 v21, v1, v13
	v_add_f16_e32 v31, v18, v45
	v_fma_f16 v18, -0.5, v23, v18
	v_sub_f16_e32 v23, v1, v13
	v_add_f16_e32 v1, v0, v1
	v_fmac_f16_e32 v0, -0.5, v21
	v_sub_f16_e32 v21, v45, v49
	v_lshrrev_b32_e32 v32, 16, v19
	v_fmamk_f16 v33, v23, 0xbaee, v18
	v_add_f16_e32 v1, v1, v13
	v_add_f16_e32 v13, v12, v15
	v_fmac_f16_e32 v18, 0x3aee, v23
	v_fmamk_f16 v23, v21, 0x3aee, v0
	v_fmac_f16_e32 v0, 0xbaee, v21
	v_add_f16_e32 v21, v10, v11
	v_add_f16_e32 v35, v19, v12
	v_fmac_f16_e32 v19, -0.5, v13
	v_sub_f16_e32 v13, v10, v11
	v_add_f16_e32 v10, v32, v10
	v_fmac_f16_e32 v32, -0.5, v21
	v_sub_f16_e32 v12, v12, v15
	v_lshrrev_b32_e32 v38, 16, v16
	v_add_f16_e32 v35, v35, v15
	v_add_f16_e32 v10, v10, v11
	;; [unrolled: 1-line block ×3, first 2 shown]
	v_fmamk_f16 v15, v13, 0xbaee, v19
	v_fmac_f16_e32 v19, 0x3aee, v13
	v_fmamk_f16 v13, v12, 0x3aee, v32
	v_fmac_f16_e32 v32, 0xbaee, v12
	v_add_f16_e32 v12, v8, v9
	v_add_f16_e32 v21, v16, v26
	v_fma_f16 v11, -0.5, v11, v16
	v_sub_f16_e32 v16, v8, v9
	v_add_f16_e32 v8, v38, v8
	v_fmac_f16_e32 v38, -0.5, v12
	v_sub_f16_e32 v12, v26, v24
	v_lshrrev_b32_e32 v41, 16, v17
	v_add_f16_e32 v21, v21, v24
	v_add_f16_e32 v8, v8, v9
	;; [unrolled: 1-line block ×3, first 2 shown]
	v_fmamk_f16 v24, v16, 0xbaee, v11
	v_fmac_f16_e32 v11, 0x3aee, v16
	v_fmamk_f16 v16, v12, 0x3aee, v38
	v_fmac_f16_e32 v38, 0xbaee, v12
	v_add_f16_e32 v12, v6, v7
	v_add_f16_e32 v26, v17, v27
	v_fmac_f16_e32 v17, -0.5, v9
	v_sub_f16_e32 v9, v6, v7
	v_add_f16_e32 v6, v41, v6
	v_fmac_f16_e32 v41, -0.5, v12
	v_sub_f16_e32 v12, v27, v25
	v_lshrrev_b32_e32 v44, 16, v14
	v_add_f16_e32 v26, v26, v25
	v_add_f16_e32 v6, v6, v7
	;; [unrolled: 1-line block ×3, first 2 shown]
	v_fmamk_f16 v25, v9, 0xbaee, v17
	v_fmac_f16_e32 v17, 0x3aee, v9
	v_fmamk_f16 v9, v12, 0x3aee, v41
	v_fmac_f16_e32 v41, 0xbaee, v12
	v_add_f16_e32 v12, v4, v5
	v_add_f16_e32 v31, v31, v49
	;; [unrolled: 1-line block ×3, first 2 shown]
	v_fmac_f16_e32 v14, -0.5, v7
	v_sub_f16_e32 v7, v4, v5
	v_add_f16_e32 v4, v44, v4
	v_fmac_f16_e32 v44, -0.5, v12
	v_sub_f16_e32 v12, v22, v20
	v_pack_b32_f16 v1, v31, v1
	v_fmamk_f16 v22, v7, 0xbaee, v14
	v_fmac_f16_e32 v14, 0x3aee, v7
	v_pack_b32_f16 v7, v33, v23
	v_pack_b32_f16 v0, v18, v0
	v_add_f16_e32 v4, v4, v5
	v_fmamk_f16 v5, v12, 0x3aee, v44
	v_fmac_f16_e32 v44, 0xbaee, v12
	v_pack_b32_f16 v10, v35, v10
	v_pack_b32_f16 v12, v15, v13
	v_add_f16_e32 v20, v27, v20
	v_pack_b32_f16 v13, v19, v32
	v_pack_b32_f16 v8, v21, v8
	;; [unrolled: 1-line block ×3, first 2 shown]
	global_wb scope:SCOPE_SE
	s_barrier_signal -1
	s_barrier_wait -1
	global_inv scope:SCOPE_SE
	ds_store_2addr_b32 v88, v1, v7 offset1:34
	ds_store_b32 v88, v0 offset:272
	ds_store_2addr_b32 v66, v10, v12 offset1:34
	ds_store_b32 v66, v13 offset:272
	ds_store_2addr_b32 v64, v8, v15 offset1:34
	v_pack_b32_f16 v0, v11, v38
	v_pack_b32_f16 v1, v26, v6
	;; [unrolled: 1-line block ×7, first 2 shown]
	ds_store_b32 v64, v0 offset:272
	ds_store_2addr_b32 v63, v1, v6 offset1:34
	ds_store_b32 v63, v7 offset:272
	ds_store_2addr_b32 v62, v4, v5 offset1:34
	ds_store_b32 v62, v8 offset:272
	s_and_saveexec_b32 s1, s0
	s_cbranch_execz .LBB0_21
; %bb.20:
	v_mul_f16_e32 v0, v67, v75
	v_mul_f16_e64 v1, v68, v196
	v_mul_f16_e64 v4, v68, v200
	v_mul_f16_e32 v5, v67, v76
	s_delay_alu instid0(VALU_DEP_4) | instskip(NEXT) | instid1(VALU_DEP_4)
	v_fma_f16 v0, v3, v76, -v0
	v_fma_f16 v1, v2, v200, -v1
	s_delay_alu instid0(VALU_DEP_4) | instskip(NEXT) | instid1(VALU_DEP_4)
	v_fmac_f16_e64 v4, v2, v196
	v_fmac_f16_e32 v5, v3, v75
	v_lshlrev_b32_e32 v2, 2, v65
	s_delay_alu instid0(VALU_DEP_4) | instskip(SKIP_1) | instid1(VALU_DEP_4)
	v_add_f16_e32 v3, v1, v0
	v_add_f16_e32 v6, v1, v29
	;; [unrolled: 1-line block ×4, first 2 shown]
	v_sub_f16_e32 v4, v4, v5
	v_fmac_f16_e32 v29, -0.5, v3
	v_sub_f16_e32 v1, v1, v0
	v_fmac_f16_e32 v28, -0.5, v7
	v_add_f16_e32 v0, v0, v6
	v_add_f16_e32 v3, v8, v5
	v_fmamk_f16 v5, v4, 0xbaee, v29
	v_fmac_f16_e32 v29, 0x3aee, v4
	v_fmamk_f16 v4, v1, 0x3aee, v28
	v_fmac_f16_e32 v28, 0xbaee, v1
	v_add_nc_u32_e32 v1, 0x800, v2
	v_pack_b32_f16 v0, v3, v0
	s_delay_alu instid0(VALU_DEP_4) | instskip(NEXT) | instid1(VALU_DEP_4)
	v_pack_b32_f16 v4, v4, v5
	v_pack_b32_f16 v3, v28, v29
	ds_store_2addr_b32 v1, v0, v3 offset0:202 offset1:236
	ds_store_b32 v2, v4 offset:3128
.LBB0_21:
	s_wait_alu 0xfffe
	s_or_b32 exec_lo, exec_lo, s1
	v_add_nc_u32_e32 v2, 0x400, v36
	v_add_nc_u32_e32 v3, 0x600, v36
	;; [unrolled: 1-line block ×3, first 2 shown]
	global_wb scope:SCOPE_SE
	s_wait_dscnt 0x0
	s_barrier_signal -1
	s_barrier_wait -1
	global_inv scope:SCOPE_SE
	ds_load_2addr_b32 v[5:6], v36 offset1:51
	ds_load_2addr_b32 v[7:8], v36 offset0:102 offset1:153
	ds_load_2addr_b32 v[9:10], v36 offset0:204 offset1:255
	;; [unrolled: 1-line block ×7, first 2 shown]
	global_wb scope:SCOPE_SE
	s_wait_dscnt 0x0
	s_barrier_signal -1
	s_barrier_wait -1
	global_inv scope:SCOPE_SE
	v_lshrrev_b32_e32 v25, 16, v11
	v_lshrrev_b32_e32 v26, 16, v12
	v_mul_f16_e32 v33, v96, v11
	v_lshrrev_b32_e32 v27, 16, v13
	v_lshrrev_b32_e32 v28, 16, v14
	v_mul_f16_e32 v37, v96, v25
	v_lshrrev_b32_e32 v29, 16, v15
	v_fma_f16 v25, v74, v25, -v33
	v_mul_f16_e32 v33, v95, v26
	v_lshrrev_b32_e32 v31, 16, v16
	v_fmac_f16_e32 v37, v74, v11
	v_mul_f16_e32 v11, v95, v12
	v_mul_f16_e32 v40, v96, v27
	;; [unrolled: 1-line block ×3, first 2 shown]
	v_fmac_f16_e32 v33, v73, v12
	v_mul_f16_e32 v12, v95, v28
	v_fma_f16 v11, v73, v26, -v11
	v_mul_f16_e32 v26, v95, v14
	v_lshrrev_b32_e32 v35, 16, v19
	v_lshrrev_b32_e32 v39, 16, v20
	v_fmac_f16_e32 v40, v74, v13
	v_fma_f16 v13, v74, v27, -v41
	v_fmac_f16_e32 v12, v73, v14
	v_mul_f16_e32 v14, v111, v29
	v_mul_f16_e32 v27, v111, v15
	;; [unrolled: 1-line block ×3, first 2 shown]
	v_fma_f16 v26, v73, v28, -v26
	v_mul_f16_e32 v28, v109, v16
	v_lshrrev_b32_e32 v0, 16, v5
	v_lshrrev_b32_e32 v1, 16, v6
	v_fmac_f16_e32 v14, v80, v15
	v_fma_f16 v15, v80, v29, -v27
	v_fmac_f16_e32 v41, v79, v16
	v_mul_f16_e32 v16, v107, v35
	v_fma_f16 v27, v79, v31, -v28
	v_mul_f16_e32 v29, v105, v39
	v_mul_f16_e32 v31, v105, v20
	v_lshrrev_b32_e32 v21, 16, v7
	v_lshrrev_b32_e32 v22, 16, v8
	v_mul_f16_e32 v28, v107, v19
	v_fmac_f16_e32 v16, v78, v19
	v_sub_f16_e32 v19, v5, v37
	v_fmac_f16_e32 v29, v77, v20
	v_fma_f16 v20, v77, v39, -v31
	v_sub_f16_e32 v25, v0, v25
	v_sub_f16_e32 v31, v6, v33
	;; [unrolled: 1-line block ×3, first 2 shown]
	v_lshrrev_b32_e32 v23, 16, v9
	v_sub_f16_e32 v33, v7, v40
	v_sub_f16_e32 v13, v21, v13
	;; [unrolled: 1-line block ×4, first 2 shown]
	v_lshrrev_b32_e32 v24, 16, v10
	v_lshrrev_b32_e32 v32, 16, v17
	v_fma_f16 v28, v78, v35, -v28
	v_lshrrev_b32_e32 v38, 16, v18
	v_fma_f16 v5, v5, 2.0, -v19
	v_fma_f16 v0, v0, 2.0, -v25
	;; [unrolled: 1-line block ×6, first 2 shown]
	v_sub_f16_e32 v14, v9, v14
	v_sub_f16_e32 v15, v23, v15
	v_fma_f16 v8, v8, 2.0, -v12
	v_fma_f16 v22, v22, 2.0, -v26
	v_sub_f16_e32 v35, v10, v41
	v_sub_f16_e32 v27, v24, v27
	;; [unrolled: 1-line block ×6, first 2 shown]
	v_pack_b32_f16 v0, v5, v0
	v_pack_b32_f16 v1, v6, v1
	v_fma_f16 v9, v9, 2.0, -v14
	v_fma_f16 v23, v23, 2.0, -v15
	v_pack_b32_f16 v5, v19, v25
	v_pack_b32_f16 v6, v31, v11
	;; [unrolled: 1-line block ×4, first 2 shown]
	v_fma_f16 v10, v10, 2.0, -v35
	v_fma_f16 v24, v24, 2.0, -v27
	;; [unrolled: 1-line block ×6, first 2 shown]
	ds_store_2addr_b32 v36, v0, v1 offset1:51
	ds_store_2addr_b32 v36, v5, v6 offset0:102 offset1:153
	v_pack_b32_f16 v0, v33, v13
	v_pack_b32_f16 v1, v12, v26
	ds_store_2addr_b32 v36, v7, v8 offset0:204 offset1:255
	v_pack_b32_f16 v5, v9, v23
	v_pack_b32_f16 v6, v14, v15
	v_add_nc_u32_e32 v7, 0x400, v72
	v_pack_b32_f16 v8, v10, v24
	v_pack_b32_f16 v9, v35, v27
	v_add_nc_u32_e32 v10, 0x400, v71
	;; [unrolled: 3-line block ×4, first 2 shown]
	ds_store_2addr_b32 v2, v0, v1 offset0:50 offset1:101
	ds_store_2addr_b32 v7, v5, v6 offset0:152 offset1:254
	;; [unrolled: 1-line block ×5, first 2 shown]
	global_wb scope:SCOPE_SE
	s_wait_dscnt 0x0
	s_barrier_signal -1
	s_barrier_wait -1
	global_inv scope:SCOPE_SE
	ds_load_2addr_b32 v[5:6], v36 offset1:51
	ds_load_2addr_b32 v[7:8], v2 offset0:152 offset1:203
	ds_load_2addr_b32 v[9:10], v36 offset0:102 offset1:153
	;; [unrolled: 1-line block ×7, first 2 shown]
	global_wb scope:SCOPE_SE
	s_wait_dscnt 0x0
	s_barrier_signal -1
	s_barrier_wait -1
	global_inv scope:SCOPE_SE
	v_lshrrev_b32_e32 v0, 16, v5
	v_lshrrev_b32_e32 v1, 16, v7
	;; [unrolled: 1-line block ×5, first 2 shown]
	v_mul_f16_e32 v37, v112, v7
	v_mul_f16_e32 v33, v112, v1
	;; [unrolled: 1-line block ×4, first 2 shown]
	v_lshrrev_b32_e32 v31, 16, v16
	v_lshrrev_b32_e32 v28, 16, v15
	v_fmac_f16_e32 v33, v83, v7
	v_mul_f16_e32 v7, v110, v22
	v_fma_f16 v1, v83, v1, -v37
	v_mul_f16_e32 v37, v110, v8
	v_fmac_f16_e32 v40, v82, v11
	v_fma_f16 v11, v82, v24, -v41
	v_fmac_f16_e32 v7, v85, v8
	v_mul_f16_e32 v8, v106, v26
	v_mul_f16_e32 v24, v106, v12
	v_lshrrev_b32_e32 v35, 16, v19
	v_mul_f16_e32 v41, v110, v31
	v_lshrrev_b32_e32 v39, 16, v20
	v_fma_f16 v22, v85, v22, -v37
	v_fmac_f16_e32 v8, v86, v12
	v_mul_f16_e32 v12, v112, v28
	v_mul_f16_e32 v37, v112, v15
	v_fma_f16 v24, v86, v26, -v24
	v_mul_f16_e32 v26, v110, v16
	v_lshrrev_b32_e32 v21, 16, v6
	v_fmac_f16_e32 v41, v85, v16
	v_mul_f16_e32 v16, v108, v35
	v_lshrrev_b32_e32 v23, 16, v9
	v_lshrrev_b32_e32 v25, 16, v10
	v_fmac_f16_e32 v12, v83, v15
	v_fma_f16 v15, v83, v28, -v37
	v_fma_f16 v26, v85, v31, -v26
	v_mul_f16_e32 v28, v108, v19
	v_mul_f16_e32 v31, v106, v39
	;; [unrolled: 1-line block ×3, first 2 shown]
	v_fmac_f16_e32 v16, v82, v19
	v_sub_f16_e32 v19, v5, v33
	v_sub_f16_e32 v1, v0, v1
	;; [unrolled: 1-line block ×4, first 2 shown]
	v_lshrrev_b32_e32 v27, 16, v13
	v_lshrrev_b32_e32 v29, 16, v14
	v_sub_f16_e32 v33, v9, v40
	v_sub_f16_e32 v11, v23, v11
	;; [unrolled: 1-line block ×4, first 2 shown]
	v_lshrrev_b32_e32 v32, 16, v17
	v_lshrrev_b32_e32 v38, 16, v18
	v_fma_f16 v28, v82, v35, -v28
	v_fmac_f16_e32 v31, v86, v20
	v_fma_f16 v20, v86, v39, -v37
	v_fma_f16 v5, v5, 2.0, -v19
	v_fma_f16 v0, v0, 2.0, -v1
	;; [unrolled: 1-line block ×6, first 2 shown]
	v_sub_f16_e32 v12, v13, v12
	v_sub_f16_e32 v15, v27, v15
	v_fma_f16 v10, v10, 2.0, -v8
	v_sub_f16_e32 v35, v14, v41
	v_fma_f16 v25, v25, 2.0, -v24
	v_sub_f16_e32 v26, v29, v26
	v_sub_f16_e32 v16, v17, v16
	;; [unrolled: 1-line block ×5, first 2 shown]
	v_pack_b32_f16 v0, v5, v0
	v_pack_b32_f16 v5, v6, v21
	v_fma_f16 v13, v13, 2.0, -v12
	v_fma_f16 v27, v27, 2.0, -v15
	;; [unrolled: 1-line block ×4, first 2 shown]
	v_pack_b32_f16 v1, v19, v1
	v_pack_b32_f16 v6, v7, v22
	;; [unrolled: 1-line block ×4, first 2 shown]
	v_fma_f16 v17, v17, 2.0, -v16
	v_fma_f16 v32, v32, 2.0, -v28
	v_fma_f16 v18, v18, 2.0, -v31
	v_fma_f16 v37, v38, 2.0, -v20
	ds_store_2addr_b32 v36, v0, v5 offset1:51
	ds_store_2addr_b32 v36, v1, v6 offset0:204 offset1:255
	v_pack_b32_f16 v0, v33, v11
	v_pack_b32_f16 v1, v8, v24
	ds_store_2addr_b32 v36, v7, v9 offset0:102 offset1:153
	v_pack_b32_f16 v5, v13, v27
	v_pack_b32_f16 v7, v14, v29
	;; [unrolled: 1-line block ×8, first 2 shown]
	ds_store_2addr_b32 v2, v0, v1 offset0:50 offset1:101
	ds_store_2addr_b32 v2, v5, v7 offset0:152 offset1:203
	;; [unrolled: 1-line block ×5, first 2 shown]
	global_wb scope:SCOPE_SE
	s_wait_dscnt 0x0
	s_barrier_signal -1
	s_barrier_wait -1
	global_inv scope:SCOPE_SE
	ds_load_2addr_b32 v[5:6], v36 offset1:51
	ds_load_2addr_b32 v[7:8], v2 offset0:152 offset1:203
	ds_load_2addr_b32 v[9:10], v36 offset0:102 offset1:153
	;; [unrolled: 1-line block ×7, first 2 shown]
	s_wait_dscnt 0x7
	v_lshrrev_b32_e32 v0, 16, v5
	s_wait_dscnt 0x6
	v_lshrrev_b32_e32 v1, 16, v7
	v_lshrrev_b32_e32 v22, 16, v8
	s_wait_dscnt 0x4
	v_lshrrev_b32_e32 v24, 16, v11
	v_mul_f16_e32 v39, v120, v7
	v_lshrrev_b32_e32 v26, 16, v12
	v_mul_f16_e32 v33, v120, v1
	v_mul_f16_e32 v40, v119, v8
	;; [unrolled: 1-line block ×3, first 2 shown]
	v_fma_f16 v1, v97, v1, -v39
	v_mul_f16_e32 v39, v118, v11
	v_fmac_f16_e32 v33, v97, v7
	v_mul_f16_e32 v7, v119, v22
	s_wait_dscnt 0x2
	v_lshrrev_b32_e32 v28, 16, v15
	v_lshrrev_b32_e32 v31, 16, v16
	v_fmac_f16_e32 v41, v102, v11
	v_mul_f16_e32 v11, v117, v26
	v_fmac_f16_e32 v7, v100, v8
	v_fma_f16 v8, v100, v22, -v40
	v_fma_f16 v22, v102, v24, -v39
	v_mul_f16_e32 v24, v117, v12
	s_wait_dscnt 0x0
	v_lshrrev_b32_e32 v38, 16, v20
	v_mul_f16_e32 v39, v116, v28
	v_mul_f16_e32 v40, v116, v15
	v_lshrrev_b32_e32 v35, 16, v19
	v_fmac_f16_e32 v11, v98, v12
	v_mul_f16_e32 v12, v115, v31
	v_fma_f16 v24, v98, v26, -v24
	v_mul_f16_e32 v26, v115, v16
	v_lshrrev_b32_e32 v21, 16, v6
	v_fmac_f16_e32 v39, v103, v15
	v_fma_f16 v15, v103, v28, -v40
	v_mul_f16_e32 v40, v113, v38
	v_lshrrev_b32_e32 v23, 16, v9
	v_lshrrev_b32_e32 v25, 16, v10
	v_fmac_f16_e32 v12, v99, v16
	v_mul_f16_e32 v16, v114, v35
	v_mul_f16_e32 v28, v114, v19
	v_fma_f16 v26, v99, v31, -v26
	v_mul_f16_e32 v31, v113, v20
	v_fmac_f16_e32 v40, v104, v20
	v_sub_f16_e32 v20, v5, v33
	v_sub_f16_e32 v1, v0, v1
	;; [unrolled: 1-line block ×4, first 2 shown]
	v_lshrrev_b32_e32 v27, 16, v13
	v_lshrrev_b32_e32 v29, 16, v14
	v_fmac_f16_e32 v16, v101, v19
	v_fma_f16 v19, v101, v35, -v28
	v_fma_f16 v28, v104, v38, -v31
	v_sub_f16_e32 v31, v9, v41
	v_sub_f16_e32 v22, v23, v22
	;; [unrolled: 1-line block ×4, first 2 shown]
	v_lshrrev_b32_e32 v32, 16, v17
	v_lshrrev_b32_e32 v37, 16, v18
	v_fma_f16 v5, v5, 2.0, -v20
	v_fma_f16 v0, v0, 2.0, -v1
	;; [unrolled: 1-line block ×5, first 2 shown]
	v_sub_f16_e32 v33, v13, v39
	v_fma_f16 v23, v23, 2.0, -v22
	v_sub_f16_e32 v15, v27, v15
	v_fma_f16 v10, v10, 2.0, -v11
	v_fma_f16 v25, v25, 2.0, -v24
	v_sub_f16_e32 v12, v14, v12
	v_sub_f16_e32 v26, v29, v26
	;; [unrolled: 1-line block ×6, first 2 shown]
	v_pack_b32_f16 v0, v5, v0
	v_pack_b32_f16 v5, v6, v21
	v_fma_f16 v13, v13, 2.0, -v33
	v_fma_f16 v27, v27, 2.0, -v15
	v_fma_f16 v14, v14, 2.0, -v12
	v_fma_f16 v29, v29, 2.0, -v26
	v_pack_b32_f16 v1, v20, v1
	v_pack_b32_f16 v6, v7, v8
	;; [unrolled: 1-line block ×4, first 2 shown]
	v_fma_f16 v17, v17, 2.0, -v16
	v_fma_f16 v32, v32, 2.0, -v19
	;; [unrolled: 1-line block ×4, first 2 shown]
	ds_store_2addr_b32 v36, v0, v5 offset1:51
	ds_store_2addr_b32 v2, v1, v6 offset0:152 offset1:203
	v_pack_b32_f16 v0, v31, v22
	v_pack_b32_f16 v1, v11, v24
	ds_store_2addr_b32 v36, v7, v8 offset0:102 offset1:153
	v_pack_b32_f16 v5, v13, v27
	v_pack_b32_f16 v7, v14, v29
	;; [unrolled: 1-line block ×8, first 2 shown]
	ds_store_2addr_b32 v3, v0, v1 offset0:126 offset1:177
	ds_store_2addr_b32 v36, v5, v7 offset0:204 offset1:255
	ds_store_2addr_b32 v4, v6, v8 offset0:100 offset1:151
	ds_store_2addr_b32 v2, v10, v9 offset0:50 offset1:101
	ds_store_2addr_b32 v4, v11, v12 offset0:202 offset1:253
	global_wb scope:SCOPE_SE
	s_wait_dscnt 0x0
	s_barrier_signal -1
	s_barrier_wait -1
	global_inv scope:SCOPE_SE
	s_and_b32 exec_lo, exec_lo, vcc_lo
	s_cbranch_execz .LBB0_23
; %bb.22:
	global_load_b32 v0, v30, s[12:13]
	ds_load_b32 v1, v36
	s_mov_b32 s8, 0x14141414
	s_mov_b32 s9, 0x3f541414
	v_mad_co_u64_u32 v[6:7], null, s6, v227, 0
	v_mad_co_u64_u32 v[8:9], null, s4, v34, 0
	s_mul_u64 s[10:11], s[4:5], 0x180
	s_wait_dscnt 0x0
	v_lshrrev_b32_e32 v2, 16, v1
	s_wait_loadcnt 0x0
	v_lshrrev_b32_e32 v3, 16, v0
	s_delay_alu instid0(VALU_DEP_1) | instskip(SKIP_1) | instid1(VALU_DEP_2)
	v_mul_f16_e32 v4, v2, v3
	v_mul_f16_e32 v3, v1, v3
	v_fmac_f16_e32 v4, v1, v0
	s_delay_alu instid0(VALU_DEP_2) | instskip(NEXT) | instid1(VALU_DEP_2)
	v_fma_f16 v0, v0, v2, -v3
	v_cvt_f32_f16_e32 v1, v4
	s_delay_alu instid0(VALU_DEP_2) | instskip(NEXT) | instid1(VALU_DEP_2)
	v_cvt_f32_f16_e32 v0, v0
	v_cvt_f64_f32_e32 v[2:3], v1
	s_delay_alu instid0(VALU_DEP_2) | instskip(SKIP_1) | instid1(VALU_DEP_2)
	v_cvt_f64_f32_e32 v[4:5], v0
	s_wait_alu 0xfffe
	v_mul_f64_e32 v[2:3], s[8:9], v[2:3]
	s_delay_alu instid0(VALU_DEP_2) | instskip(NEXT) | instid1(VALU_DEP_2)
	v_mul_f64_e32 v[4:5], s[8:9], v[4:5]
	v_and_or_b32 v0, 0x1ff, v3, v2
	s_delay_alu instid0(VALU_DEP_2)
	v_and_or_b32 v2, 0x1ff, v5, v4
	v_lshrrev_b32_e32 v1, 8, v3
	v_bfe_u32 v11, v3, 20, 11
	v_bfe_u32 v12, v5, 20, 11
	v_cmp_ne_u32_e32 vcc_lo, 0, v0
	v_lshrrev_b32_e32 v4, 8, v5
	v_lshrrev_b32_e32 v5, 16, v5
	v_sub_nc_u32_e32 v13, 0x3f1, v11
	v_sub_nc_u32_e32 v14, 0x3f1, v12
	v_cndmask_b32_e64 v0, 0, 1, vcc_lo
	v_cmp_ne_u32_e32 vcc_lo, 0, v2
	v_mov_b32_e32 v2, v9
	s_delay_alu instid0(VALU_DEP_3) | instskip(SKIP_2) | instid1(VALU_DEP_1)
	v_and_or_b32 v0, 0xffe, v1, v0
	s_wait_alu 0xfffd
	v_cndmask_b32_e64 v10, 0, 1, vcc_lo
	v_and_or_b32 v4, 0xffe, v4, v10
	v_mad_co_u64_u32 v[9:10], null, s7, v227, v[7:8]
	v_med3_i32 v10, v13, 0, 13
	v_med3_i32 v13, v14, 0, 13
	v_or_b32_e32 v14, 0x1000, v0
	v_or_b32_e32 v15, 0x1000, v4
	s_mul_u64 s[6:7], s[4:5], 0xc0
	v_mov_b32_e32 v7, v9
	s_delay_alu instid0(VALU_DEP_3) | instskip(SKIP_2) | instid1(VALU_DEP_3)
	v_lshrrev_b32_e32 v16, v10, v14
	v_mad_co_u64_u32 v[1:2], null, s5, v34, v[2:3]
	v_lshrrev_b32_e32 v17, v13, v15
	v_lshlrev_b32_e32 v2, v10, v16
	v_add_nc_u32_e32 v10, 0xfffffc10, v11
	v_add_nc_u32_e32 v11, 0xfffffc10, v12
	v_mov_b32_e32 v9, v1
	v_lshlrev_b32_e32 v1, v13, v17
	v_cmp_ne_u32_e32 vcc_lo, v2, v14
	v_lshrrev_b32_e32 v14, 16, v3
	s_wait_alu 0xfffd
	v_cndmask_b32_e64 v12, 0, 1, vcc_lo
	v_cmp_ne_u32_e32 vcc_lo, v1, v15
	v_lshlrev_b64_e32 v[1:2], 2, v[6:7]
	v_lshl_or_b32 v6, v10, 12, v0
	s_delay_alu instid0(VALU_DEP_4) | instskip(SKIP_4) | instid1(VALU_DEP_3)
	v_or_b32_e32 v7, v16, v12
	s_wait_alu 0xfffd
	v_cndmask_b32_e64 v13, 0, 1, vcc_lo
	v_cmp_gt_i32_e32 vcc_lo, 1, v10
	v_lshl_or_b32 v12, v11, 12, v4
	v_or_b32_e32 v13, v17, v13
	s_wait_alu 0xfffd
	v_cndmask_b32_e32 v3, v6, v7, vcc_lo
	v_cmp_gt_i32_e32 vcc_lo, 1, v11
	s_wait_alu 0xfffd
	v_cndmask_b32_e32 v6, v12, v13, vcc_lo
	v_cmp_ne_u32_e32 vcc_lo, 0, v0
	s_delay_alu instid0(VALU_DEP_2)
	v_and_b32_e32 v12, 7, v6
	s_wait_alu 0xfffd
	v_cndmask_b32_e64 v0, 0, 1, vcc_lo
	v_cmp_ne_u32_e32 vcc_lo, 0, v4
	v_lshrrev_b32_e32 v6, 2, v6
	v_cmp_lt_i32_e64 s1, 5, v12
	s_delay_alu instid0(VALU_DEP_4)
	v_lshl_or_b32 v0, v0, 9, 0x7c00
	v_and_b32_e32 v7, 7, v3
	s_wait_alu 0xfffd
	v_cndmask_b32_e64 v4, 0, 1, vcc_lo
	v_lshrrev_b32_e32 v3, 2, v3
	v_cmp_eq_u32_e64 s2, 3, v12
	v_cmp_lt_i32_e32 vcc_lo, 5, v7
	v_cmp_eq_u32_e64 s0, 3, v7
	v_lshl_or_b32 v7, v4, 9, 0x7c00
	s_delay_alu instid0(VALU_DEP_2)
	s_or_b32 vcc_lo, s0, vcc_lo
	s_wait_alu 0xfffe
	v_add_co_ci_u32_e32 v3, vcc_lo, 0, v3, vcc_lo
	s_or_b32 vcc_lo, s2, s1
	s_wait_alu 0xfffe
	v_add_co_ci_u32_e32 v6, vcc_lo, 0, v6, vcc_lo
	v_cmp_gt_i32_e32 vcc_lo, 31, v10
	s_wait_alu 0xfffd
	v_cndmask_b32_e32 v3, 0x7c00, v3, vcc_lo
	v_cmp_gt_i32_e32 vcc_lo, 31, v11
	s_wait_alu 0xfffd
	v_cndmask_b32_e32 v6, 0x7c00, v6, vcc_lo
	v_cmp_eq_u32_e32 vcc_lo, 0x40f, v10
	s_wait_alu 0xfffd
	v_cndmask_b32_e32 v0, v3, v0, vcc_lo
	v_cmp_eq_u32_e32 vcc_lo, 0x40f, v11
	v_lshlrev_b64_e32 v[3:4], 2, v[8:9]
	s_delay_alu instid0(VALU_DEP_3)
	v_and_or_b32 v0, 0x8000, v14, v0
	s_wait_alu 0xfffd
	v_cndmask_b32_e32 v6, v6, v7, vcc_lo
	v_add_co_u32 v1, vcc_lo, s14, v1
	s_wait_alu 0xfffd
	v_add_co_ci_u32_e32 v2, vcc_lo, s15, v2, vcc_lo
	s_delay_alu instid0(VALU_DEP_3) | instskip(SKIP_4) | instid1(VALU_DEP_3)
	v_and_or_b32 v5, 0x8000, v5, v6
	v_and_b32_e32 v0, 0xffff, v0
	v_add_co_u32 v3, vcc_lo, v1, v3
	s_wait_alu 0xfffd
	v_add_co_ci_u32_e32 v4, vcc_lo, v2, v4, vcc_lo
	v_lshl_or_b32 v0, v5, 16, v0
	ds_load_2addr_b32 v[5:6], v30 offset0:48 offset1:96
	global_store_b32 v[3:4], v0, off
	global_load_b32 v0, v30, s[12:13] offset:192
	s_wait_dscnt 0x0
	v_lshrrev_b32_e32 v7, 16, v5
	s_wait_loadcnt 0x0
	v_lshrrev_b32_e32 v8, 16, v0
	s_delay_alu instid0(VALU_DEP_1) | instskip(SKIP_1) | instid1(VALU_DEP_2)
	v_mul_f16_e32 v9, v7, v8
	v_mul_f16_e32 v8, v5, v8
	v_fmac_f16_e32 v9, v5, v0
	s_delay_alu instid0(VALU_DEP_2) | instskip(NEXT) | instid1(VALU_DEP_2)
	v_fma_f16 v0, v0, v7, -v8
	v_cvt_f32_f16_e32 v5, v9
	s_delay_alu instid0(VALU_DEP_2) | instskip(NEXT) | instid1(VALU_DEP_2)
	v_cvt_f32_f16_e32 v0, v0
	v_cvt_f64_f32_e32 v[7:8], v5
	s_delay_alu instid0(VALU_DEP_2) | instskip(NEXT) | instid1(VALU_DEP_2)
	v_cvt_f64_f32_e32 v[9:10], v0
	v_mul_f64_e32 v[7:8], s[8:9], v[7:8]
	s_delay_alu instid0(VALU_DEP_2) | instskip(NEXT) | instid1(VALU_DEP_2)
	v_mul_f64_e32 v[9:10], s[8:9], v[9:10]
	v_and_or_b32 v0, 0x1ff, v8, v7
	s_delay_alu instid0(VALU_DEP_2)
	v_and_or_b32 v9, 0x1ff, v10, v9
	v_lshrrev_b32_e32 v5, 8, v8
	v_bfe_u32 v7, v8, 20, 11
	v_lshrrev_b32_e32 v11, 8, v10
	v_cmp_ne_u32_e32 vcc_lo, 0, v0
	v_bfe_u32 v12, v10, 20, 11
	v_lshrrev_b32_e32 v8, 16, v8
	v_sub_nc_u32_e32 v13, 0x3f1, v7
	v_add_nc_u32_e32 v7, 0xfffffc10, v7
	s_wait_alu 0xfffd
	v_cndmask_b32_e64 v0, 0, 1, vcc_lo
	v_cmp_ne_u32_e32 vcc_lo, 0, v9
	s_delay_alu instid0(VALU_DEP_2) | instskip(SKIP_4) | instid1(VALU_DEP_3)
	v_and_or_b32 v0, 0xffe, v5, v0
	s_wait_alu 0xfffd
	v_cndmask_b32_e64 v9, 0, 1, vcc_lo
	v_sub_nc_u32_e32 v5, 0x3f1, v12
	v_add_nc_u32_e32 v12, 0xfffffc10, v12
	v_and_or_b32 v9, 0xffe, v11, v9
	v_med3_i32 v11, v13, 0, 13
	v_or_b32_e32 v13, 0x1000, v0
	v_med3_i32 v5, v5, 0, 13
	s_delay_alu instid0(VALU_DEP_4) | instskip(NEXT) | instid1(VALU_DEP_3)
	v_or_b32_e32 v14, 0x1000, v9
	v_lshrrev_b32_e32 v15, v11, v13
	s_delay_alu instid0(VALU_DEP_2) | instskip(NEXT) | instid1(VALU_DEP_2)
	v_lshrrev_b32_e32 v16, v5, v14
	v_lshlrev_b32_e32 v11, v11, v15
	s_delay_alu instid0(VALU_DEP_2) | instskip(NEXT) | instid1(VALU_DEP_2)
	v_lshlrev_b32_e32 v5, v5, v16
	v_cmp_ne_u32_e32 vcc_lo, v11, v13
	v_lshl_or_b32 v13, v7, 12, v0
	s_wait_alu 0xfffd
	v_cndmask_b32_e64 v11, 0, 1, vcc_lo
	v_cmp_ne_u32_e32 vcc_lo, v5, v14
	v_lshl_or_b32 v14, v12, 12, v9
	s_delay_alu instid0(VALU_DEP_3) | instskip(SKIP_3) | instid1(VALU_DEP_2)
	v_or_b32_e32 v11, v15, v11
	s_wait_alu 0xfffd
	v_cndmask_b32_e64 v5, 0, 1, vcc_lo
	v_cmp_gt_i32_e32 vcc_lo, 1, v7
	v_or_b32_e32 v5, v16, v5
	s_wait_alu 0xfffd
	v_cndmask_b32_e32 v11, v13, v11, vcc_lo
	v_cmp_gt_i32_e32 vcc_lo, 1, v12
	s_delay_alu instid0(VALU_DEP_2)
	v_and_b32_e32 v13, 7, v11
	s_wait_alu 0xfffd
	v_cndmask_b32_e32 v5, v14, v5, vcc_lo
	v_cmp_ne_u32_e32 vcc_lo, 0, v0
	v_lshrrev_b32_e32 v11, 2, v11
	v_cmp_eq_u32_e64 s0, 3, v13
	s_delay_alu instid0(VALU_DEP_4)
	v_and_b32_e32 v14, 7, v5
	s_wait_alu 0xfffd
	v_cndmask_b32_e64 v0, 0, 1, vcc_lo
	v_cmp_ne_u32_e32 vcc_lo, 0, v9
	v_lshrrev_b32_e32 v5, 2, v5
	v_cmp_lt_i32_e64 s1, 5, v14
	v_cmp_eq_u32_e64 s2, 3, v14
	s_wait_alu 0xfffd
	v_cndmask_b32_e64 v9, 0, 1, vcc_lo
	v_cmp_lt_i32_e32 vcc_lo, 5, v13
	v_lshl_or_b32 v0, v0, 9, 0x7c00
	s_delay_alu instid0(VALU_DEP_3)
	v_lshl_or_b32 v9, v9, 9, 0x7c00
	s_or_b32 vcc_lo, s0, vcc_lo
	s_wait_alu 0xfffe
	v_add_co_ci_u32_e32 v11, vcc_lo, 0, v11, vcc_lo
	s_or_b32 vcc_lo, s2, s1
	s_wait_alu 0xfffe
	v_add_co_ci_u32_e32 v5, vcc_lo, 0, v5, vcc_lo
	v_cmp_gt_i32_e32 vcc_lo, 31, v7
	s_wait_alu 0xfffd
	v_cndmask_b32_e32 v11, 0x7c00, v11, vcc_lo
	v_cmp_gt_i32_e32 vcc_lo, 31, v12
	s_wait_alu 0xfffd
	v_cndmask_b32_e32 v5, 0x7c00, v5, vcc_lo
	v_cmp_eq_u32_e32 vcc_lo, 0x40f, v7
	v_lshrrev_b32_e32 v7, 16, v10
	s_wait_alu 0xfffd
	v_cndmask_b32_e32 v0, v11, v0, vcc_lo
	v_cmp_eq_u32_e32 vcc_lo, 0x40f, v12
	s_delay_alu instid0(VALU_DEP_2)
	v_and_or_b32 v0, 0x8000, v8, v0
	s_wait_alu 0xfffd
	v_cndmask_b32_e32 v5, v5, v9, vcc_lo
	v_add_co_u32 v3, vcc_lo, v3, s6
	s_wait_alu 0xfffd
	v_add_co_ci_u32_e32 v4, vcc_lo, s7, v4, vcc_lo
	s_delay_alu instid0(VALU_DEP_3) | instskip(SKIP_1) | instid1(VALU_DEP_1)
	v_and_or_b32 v5, 0x8000, v7, v5
	v_and_b32_e32 v0, 0xffff, v0
	v_lshl_or_b32 v0, v5, 16, v0
	v_lshrrev_b32_e32 v5, 16, v6
	global_store_b32 v[3:4], v0, off
	global_load_b32 v0, v30, s[12:13] offset:384
	s_wait_loadcnt 0x0
	v_lshrrev_b32_e32 v7, 16, v0
	s_delay_alu instid0(VALU_DEP_1) | instskip(SKIP_1) | instid1(VALU_DEP_2)
	v_mul_f16_e32 v8, v5, v7
	v_mul_f16_e32 v7, v6, v7
	v_fmac_f16_e32 v8, v6, v0
	s_delay_alu instid0(VALU_DEP_2) | instskip(NEXT) | instid1(VALU_DEP_2)
	v_fma_f16 v0, v0, v5, -v7
	v_cvt_f32_f16_e32 v5, v8
	s_delay_alu instid0(VALU_DEP_2) | instskip(NEXT) | instid1(VALU_DEP_2)
	v_cvt_f32_f16_e32 v0, v0
	v_cvt_f64_f32_e32 v[5:6], v5
	s_delay_alu instid0(VALU_DEP_2) | instskip(NEXT) | instid1(VALU_DEP_2)
	v_cvt_f64_f32_e32 v[7:8], v0
	v_mul_f64_e32 v[5:6], s[8:9], v[5:6]
	s_delay_alu instid0(VALU_DEP_2) | instskip(NEXT) | instid1(VALU_DEP_2)
	v_mul_f64_e32 v[7:8], s[8:9], v[7:8]
	v_and_or_b32 v0, 0x1ff, v6, v5
	s_delay_alu instid0(VALU_DEP_2)
	v_and_or_b32 v7, 0x1ff, v8, v7
	v_lshrrev_b32_e32 v5, 8, v6
	v_bfe_u32 v9, v6, 20, 11
	v_lshrrev_b32_e32 v10, 8, v8
	v_cmp_ne_u32_e32 vcc_lo, 0, v0
	v_bfe_u32 v11, v8, 20, 11
	v_lshrrev_b32_e32 v6, 16, v6
	v_sub_nc_u32_e32 v12, 0x3f1, v9
	v_add_nc_u32_e32 v9, 0xfffffc10, v9
	s_wait_alu 0xfffd
	v_cndmask_b32_e64 v0, 0, 1, vcc_lo
	v_cmp_ne_u32_e32 vcc_lo, 0, v7
	v_lshrrev_b32_e32 v8, 16, v8
	s_delay_alu instid0(VALU_DEP_3) | instskip(SKIP_4) | instid1(VALU_DEP_3)
	v_and_or_b32 v0, 0xffe, v5, v0
	s_wait_alu 0xfffd
	v_cndmask_b32_e64 v7, 0, 1, vcc_lo
	v_sub_nc_u32_e32 v5, 0x3f1, v11
	v_add_nc_u32_e32 v11, 0xfffffc10, v11
	v_and_or_b32 v7, 0xffe, v10, v7
	v_med3_i32 v10, v12, 0, 13
	v_or_b32_e32 v12, 0x1000, v0
	v_med3_i32 v5, v5, 0, 13
	s_delay_alu instid0(VALU_DEP_4) | instskip(NEXT) | instid1(VALU_DEP_3)
	v_or_b32_e32 v13, 0x1000, v7
	v_lshrrev_b32_e32 v14, v10, v12
	s_delay_alu instid0(VALU_DEP_2) | instskip(NEXT) | instid1(VALU_DEP_2)
	v_lshrrev_b32_e32 v15, v5, v13
	v_lshlrev_b32_e32 v10, v10, v14
	s_delay_alu instid0(VALU_DEP_2) | instskip(NEXT) | instid1(VALU_DEP_2)
	v_lshlrev_b32_e32 v5, v5, v15
	v_cmp_ne_u32_e32 vcc_lo, v10, v12
	v_lshl_or_b32 v12, v9, 12, v0
	s_wait_alu 0xfffd
	v_cndmask_b32_e64 v10, 0, 1, vcc_lo
	v_cmp_ne_u32_e32 vcc_lo, v5, v13
	v_lshl_or_b32 v13, v11, 12, v7
	s_delay_alu instid0(VALU_DEP_3) | instskip(SKIP_3) | instid1(VALU_DEP_2)
	v_or_b32_e32 v10, v14, v10
	s_wait_alu 0xfffd
	v_cndmask_b32_e64 v5, 0, 1, vcc_lo
	v_cmp_gt_i32_e32 vcc_lo, 1, v9
	v_or_b32_e32 v5, v15, v5
	s_wait_alu 0xfffd
	v_cndmask_b32_e32 v10, v12, v10, vcc_lo
	v_cmp_gt_i32_e32 vcc_lo, 1, v11
	s_wait_alu 0xfffd
	s_delay_alu instid0(VALU_DEP_2) | instskip(SKIP_2) | instid1(VALU_DEP_3)
	v_dual_cndmask_b32 v5, v13, v5 :: v_dual_and_b32 v12, 7, v10
	v_cmp_ne_u32_e32 vcc_lo, 0, v0
	v_lshrrev_b32_e32 v10, 2, v10
	v_cmp_eq_u32_e64 s0, 3, v12
	s_delay_alu instid0(VALU_DEP_4)
	v_and_b32_e32 v13, 7, v5
	s_wait_alu 0xfffd
	v_cndmask_b32_e64 v0, 0, 1, vcc_lo
	v_cmp_ne_u32_e32 vcc_lo, 0, v7
	v_lshrrev_b32_e32 v5, 2, v5
	v_cmp_lt_i32_e64 s1, 5, v13
	v_cmp_eq_u32_e64 s2, 3, v13
	s_wait_alu 0xfffd
	v_cndmask_b32_e64 v7, 0, 1, vcc_lo
	v_cmp_lt_i32_e32 vcc_lo, 5, v12
	v_lshl_or_b32 v0, v0, 9, 0x7c00
	s_delay_alu instid0(VALU_DEP_3)
	v_lshl_or_b32 v7, v7, 9, 0x7c00
	s_or_b32 vcc_lo, s0, vcc_lo
	s_wait_alu 0xfffe
	v_add_co_ci_u32_e32 v10, vcc_lo, 0, v10, vcc_lo
	s_or_b32 vcc_lo, s2, s1
	s_wait_alu 0xfffe
	v_add_co_ci_u32_e32 v5, vcc_lo, 0, v5, vcc_lo
	v_cmp_gt_i32_e32 vcc_lo, 31, v9
	s_wait_alu 0xfffd
	v_cndmask_b32_e32 v10, 0x7c00, v10, vcc_lo
	v_cmp_gt_i32_e32 vcc_lo, 31, v11
	s_wait_alu 0xfffd
	v_cndmask_b32_e32 v5, 0x7c00, v5, vcc_lo
	v_cmp_eq_u32_e32 vcc_lo, 0x40f, v9
	s_wait_alu 0xfffd
	v_cndmask_b32_e32 v0, v10, v0, vcc_lo
	v_cmp_eq_u32_e32 vcc_lo, 0x40f, v11
	s_delay_alu instid0(VALU_DEP_2)
	v_and_or_b32 v0, 0x8000, v6, v0
	s_wait_alu 0xfffd
	v_cndmask_b32_e32 v5, v5, v7, vcc_lo
	v_add_co_u32 v3, vcc_lo, v3, s6
	s_wait_alu 0xfffd
	v_add_co_ci_u32_e32 v4, vcc_lo, s7, v4, vcc_lo
	v_and_b32_e32 v0, 0xffff, v0
	v_and_or_b32 v5, 0x8000, v8, v5
	s_delay_alu instid0(VALU_DEP_1)
	v_lshl_or_b32 v0, v5, 16, v0
	ds_load_2addr_b32 v[5:6], v30 offset0:144 offset1:192
	global_store_b32 v[3:4], v0, off
	global_load_b32 v0, v30, s[12:13] offset:576
	s_wait_dscnt 0x0
	v_lshrrev_b32_e32 v7, 16, v5
	s_wait_loadcnt 0x0
	v_lshrrev_b32_e32 v8, 16, v0
	s_delay_alu instid0(VALU_DEP_1) | instskip(SKIP_1) | instid1(VALU_DEP_2)
	v_mul_f16_e32 v9, v7, v8
	v_mul_f16_e32 v8, v5, v8
	v_fmac_f16_e32 v9, v5, v0
	s_delay_alu instid0(VALU_DEP_2) | instskip(NEXT) | instid1(VALU_DEP_2)
	v_fma_f16 v0, v0, v7, -v8
	v_cvt_f32_f16_e32 v5, v9
	s_delay_alu instid0(VALU_DEP_2) | instskip(NEXT) | instid1(VALU_DEP_2)
	v_cvt_f32_f16_e32 v0, v0
	v_cvt_f64_f32_e32 v[7:8], v5
	s_delay_alu instid0(VALU_DEP_2) | instskip(NEXT) | instid1(VALU_DEP_2)
	v_cvt_f64_f32_e32 v[9:10], v0
	v_mul_f64_e32 v[7:8], s[8:9], v[7:8]
	s_delay_alu instid0(VALU_DEP_2) | instskip(NEXT) | instid1(VALU_DEP_2)
	v_mul_f64_e32 v[9:10], s[8:9], v[9:10]
	v_and_or_b32 v0, 0x1ff, v8, v7
	s_delay_alu instid0(VALU_DEP_2)
	v_and_or_b32 v9, 0x1ff, v10, v9
	v_lshrrev_b32_e32 v5, 8, v8
	v_bfe_u32 v7, v8, 20, 11
	v_lshrrev_b32_e32 v11, 8, v10
	v_cmp_ne_u32_e32 vcc_lo, 0, v0
	v_bfe_u32 v12, v10, 20, 11
	v_lshrrev_b32_e32 v8, 16, v8
	v_sub_nc_u32_e32 v13, 0x3f1, v7
	v_add_nc_u32_e32 v7, 0xfffffc10, v7
	s_wait_alu 0xfffd
	v_cndmask_b32_e64 v0, 0, 1, vcc_lo
	v_cmp_ne_u32_e32 vcc_lo, 0, v9
	s_delay_alu instid0(VALU_DEP_2) | instskip(SKIP_3) | instid1(VALU_DEP_2)
	v_and_or_b32 v0, 0xffe, v5, v0
	s_wait_alu 0xfffd
	v_cndmask_b32_e64 v9, 0, 1, vcc_lo
	v_sub_nc_u32_e32 v5, 0x3f1, v12
	v_and_or_b32 v9, 0xffe, v11, v9
	v_med3_i32 v11, v13, 0, 13
	v_or_b32_e32 v13, 0x1000, v0
	s_delay_alu instid0(VALU_DEP_4) | instskip(NEXT) | instid1(VALU_DEP_4)
	v_med3_i32 v5, v5, 0, 13
	v_or_b32_e32 v14, 0x1000, v9
	s_delay_alu instid0(VALU_DEP_3) | instskip(NEXT) | instid1(VALU_DEP_2)
	v_lshrrev_b32_e32 v15, v11, v13
	v_lshrrev_b32_e32 v16, v5, v14
	s_delay_alu instid0(VALU_DEP_2) | instskip(NEXT) | instid1(VALU_DEP_2)
	v_lshlrev_b32_e32 v11, v11, v15
	v_lshlrev_b32_e32 v5, v5, v16
	s_delay_alu instid0(VALU_DEP_2) | instskip(SKIP_4) | instid1(VALU_DEP_2)
	v_cmp_ne_u32_e32 vcc_lo, v11, v13
	v_lshl_or_b32 v13, v7, 12, v0
	s_wait_alu 0xfffd
	v_cndmask_b32_e64 v11, 0, 1, vcc_lo
	v_cmp_ne_u32_e32 vcc_lo, v5, v14
	v_or_b32_e32 v11, v15, v11
	s_wait_alu 0xfffd
	v_cndmask_b32_e64 v5, 0, 1, vcc_lo
	v_cmp_gt_i32_e32 vcc_lo, 1, v7
	v_add_nc_u32_e32 v12, 0xfffffc10, v12
	s_delay_alu instid0(VALU_DEP_3) | instskip(SKIP_2) | instid1(VALU_DEP_3)
	v_or_b32_e32 v5, v16, v5
	s_wait_alu 0xfffd
	v_cndmask_b32_e32 v11, v13, v11, vcc_lo
	v_lshl_or_b32 v14, v12, 12, v9
	v_cmp_gt_i32_e32 vcc_lo, 1, v12
	s_delay_alu instid0(VALU_DEP_3)
	v_and_b32_e32 v13, 7, v11
	v_lshrrev_b32_e32 v11, 2, v11
	s_wait_alu 0xfffd
	v_cndmask_b32_e32 v5, v14, v5, vcc_lo
	v_cmp_ne_u32_e32 vcc_lo, 0, v0
	v_cmp_eq_u32_e64 s0, 3, v13
	s_wait_alu 0xfffd
	v_cndmask_b32_e64 v0, 0, 1, vcc_lo
	v_cmp_ne_u32_e32 vcc_lo, 0, v9
	s_delay_alu instid0(VALU_DEP_2) | instskip(SKIP_3) | instid1(VALU_DEP_2)
	v_lshl_or_b32 v0, v0, 9, 0x7c00
	s_wait_alu 0xfffd
	v_cndmask_b32_e64 v9, 0, 1, vcc_lo
	v_cmp_lt_i32_e32 vcc_lo, 5, v13
	v_lshl_or_b32 v9, v9, 9, 0x7c00
	s_or_b32 vcc_lo, s0, vcc_lo
	s_wait_alu 0xfffe
	v_add_co_ci_u32_e32 v11, vcc_lo, 0, v11, vcc_lo
	v_and_b32_e32 v14, 7, v5
	v_lshrrev_b32_e32 v5, 2, v5
	s_delay_alu instid0(VALU_DEP_2) | instskip(SKIP_1) | instid1(VALU_DEP_1)
	v_cmp_lt_i32_e64 s1, 5, v14
	v_cmp_eq_u32_e64 s2, 3, v14
	s_or_b32 vcc_lo, s2, s1
	s_wait_alu 0xfffe
	v_add_co_ci_u32_e32 v5, vcc_lo, 0, v5, vcc_lo
	v_cmp_gt_i32_e32 vcc_lo, 31, v7
	s_wait_alu 0xfffd
	v_cndmask_b32_e32 v11, 0x7c00, v11, vcc_lo
	v_cmp_gt_i32_e32 vcc_lo, 31, v12
	s_wait_alu 0xfffd
	v_cndmask_b32_e32 v5, 0x7c00, v5, vcc_lo
	v_cmp_eq_u32_e32 vcc_lo, 0x40f, v7
	v_lshrrev_b32_e32 v7, 16, v10
	s_wait_alu 0xfffd
	v_cndmask_b32_e32 v0, v11, v0, vcc_lo
	v_cmp_eq_u32_e32 vcc_lo, 0x40f, v12
	s_delay_alu instid0(VALU_DEP_2)
	v_and_or_b32 v0, 0x8000, v8, v0
	s_wait_alu 0xfffd
	v_cndmask_b32_e32 v5, v5, v9, vcc_lo
	v_add_co_u32 v3, vcc_lo, v3, s6
	s_wait_alu 0xfffd
	v_add_co_ci_u32_e32 v4, vcc_lo, s7, v4, vcc_lo
	s_delay_alu instid0(VALU_DEP_3) | instskip(SKIP_1) | instid1(VALU_DEP_1)
	v_and_or_b32 v5, 0x8000, v7, v5
	v_and_b32_e32 v0, 0xffff, v0
	v_lshl_or_b32 v0, v5, 16, v0
	v_lshrrev_b32_e32 v5, 16, v6
	global_store_b32 v[3:4], v0, off
	global_load_b32 v0, v30, s[12:13] offset:768
	s_wait_loadcnt 0x0
	v_lshrrev_b32_e32 v7, 16, v0
	s_delay_alu instid0(VALU_DEP_1) | instskip(SKIP_1) | instid1(VALU_DEP_2)
	v_mul_f16_e32 v8, v5, v7
	v_mul_f16_e32 v7, v6, v7
	v_fmac_f16_e32 v8, v6, v0
	s_delay_alu instid0(VALU_DEP_2) | instskip(NEXT) | instid1(VALU_DEP_2)
	v_fma_f16 v0, v0, v5, -v7
	v_cvt_f32_f16_e32 v5, v8
	s_delay_alu instid0(VALU_DEP_2) | instskip(NEXT) | instid1(VALU_DEP_2)
	v_cvt_f32_f16_e32 v0, v0
	v_cvt_f64_f32_e32 v[5:6], v5
	s_delay_alu instid0(VALU_DEP_2) | instskip(NEXT) | instid1(VALU_DEP_2)
	v_cvt_f64_f32_e32 v[7:8], v0
	v_mul_f64_e32 v[5:6], s[8:9], v[5:6]
	s_delay_alu instid0(VALU_DEP_2) | instskip(NEXT) | instid1(VALU_DEP_2)
	v_mul_f64_e32 v[7:8], s[8:9], v[7:8]
	v_and_or_b32 v0, 0x1ff, v6, v5
	s_delay_alu instid0(VALU_DEP_2)
	v_and_or_b32 v7, 0x1ff, v8, v7
	v_lshrrev_b32_e32 v5, 8, v6
	v_bfe_u32 v11, v6, 20, 11
	v_lshrrev_b32_e32 v9, 8, v8
	v_cmp_ne_u32_e32 vcc_lo, 0, v0
	v_bfe_u32 v12, v8, 20, 11
	v_lshrrev_b32_e32 v8, 16, v8
	v_sub_nc_u32_e32 v10, 0x3f1, v11
	s_wait_alu 0xfffd
	v_cndmask_b32_e64 v0, 0, 1, vcc_lo
	v_cmp_ne_u32_e32 vcc_lo, 0, v7
	v_sub_nc_u32_e32 v13, 0x3f1, v12
	v_add_nc_u32_e32 v12, 0xfffffc10, v12
	s_delay_alu instid0(VALU_DEP_4)
	v_and_or_b32 v0, 0xffe, v5, v0
	s_wait_alu 0xfffd
	v_cndmask_b32_e64 v7, 0, 1, vcc_lo
	v_med3_i32 v5, v10, 0, 13
	v_med3_i32 v13, v13, 0, 13
	v_or_b32_e32 v14, 0x1000, v0
	s_delay_alu instid0(VALU_DEP_4) | instskip(SKIP_1) | instid1(VALU_DEP_3)
	v_and_or_b32 v7, 0xffe, v9, v7
	v_mad_co_u64_u32 v[9:10], null, s4, v226, 0
	v_lshrrev_b32_e32 v16, v5, v14
	s_delay_alu instid0(VALU_DEP_3) | instskip(NEXT) | instid1(VALU_DEP_2)
	v_or_b32_e32 v15, 0x1000, v7
	v_dual_mov_b32 v5, v10 :: v_dual_lshlrev_b32 v18, v5, v16
	s_delay_alu instid0(VALU_DEP_2) | instskip(NEXT) | instid1(VALU_DEP_2)
	v_lshrrev_b32_e32 v17, v13, v15
	v_cmp_ne_u32_e32 vcc_lo, v18, v14
	s_delay_alu instid0(VALU_DEP_2) | instskip(SKIP_3) | instid1(VALU_DEP_3)
	v_lshlrev_b32_e32 v10, v13, v17
	v_add_nc_u32_e32 v13, 0xfffffc10, v11
	s_wait_alu 0xfffd
	v_cndmask_b32_e64 v14, 0, 1, vcc_lo
	v_cmp_ne_u32_e32 vcc_lo, v10, v15
	v_mad_co_u64_u32 v[10:11], null, s5, v226, v[5:6]
	v_lshl_or_b32 v5, v13, 12, v0
	s_delay_alu instid0(VALU_DEP_4)
	v_or_b32_e32 v11, v16, v14
	s_wait_alu 0xfffd
	v_cndmask_b32_e64 v15, 0, 1, vcc_lo
	v_cmp_gt_i32_e32 vcc_lo, 1, v13
	v_lshl_or_b32 v14, v12, 12, v7
	v_lshrrev_b32_e32 v6, 16, v6
	s_delay_alu instid0(VALU_DEP_4)
	v_or_b32_e32 v15, v17, v15
	s_wait_alu 0xfffd
	v_cndmask_b32_e32 v5, v5, v11, vcc_lo
	v_cmp_gt_i32_e32 vcc_lo, 1, v12
	s_wait_alu 0xfffd
	v_cndmask_b32_e32 v11, v14, v15, vcc_lo
	v_cmp_ne_u32_e32 vcc_lo, 0, v0
	v_and_b32_e32 v14, 7, v5
	v_lshrrev_b32_e32 v5, 2, v5
	s_delay_alu instid0(VALU_DEP_4)
	v_and_b32_e32 v15, 7, v11
	s_wait_alu 0xfffd
	v_cndmask_b32_e64 v0, 0, 1, vcc_lo
	v_cmp_ne_u32_e32 vcc_lo, 0, v7
	v_cmp_eq_u32_e64 s0, 3, v14
	v_lshrrev_b32_e32 v11, 2, v11
	v_cmp_lt_i32_e64 s1, 5, v15
	v_cmp_eq_u32_e64 s2, 3, v15
	s_wait_alu 0xfffd
	v_cndmask_b32_e64 v7, 0, 1, vcc_lo
	v_cmp_lt_i32_e32 vcc_lo, 5, v14
	v_lshl_or_b32 v0, v0, 9, 0x7c00
	s_delay_alu instid0(VALU_DEP_3)
	v_lshl_or_b32 v7, v7, 9, 0x7c00
	s_or_b32 vcc_lo, s0, vcc_lo
	s_wait_alu 0xfffe
	v_add_co_ci_u32_e32 v5, vcc_lo, 0, v5, vcc_lo
	s_or_b32 vcc_lo, s2, s1
	s_wait_alu 0xfffe
	v_add_co_ci_u32_e32 v11, vcc_lo, 0, v11, vcc_lo
	v_cmp_gt_i32_e32 vcc_lo, 31, v13
	s_wait_alu 0xfffd
	v_cndmask_b32_e32 v5, 0x7c00, v5, vcc_lo
	v_cmp_gt_i32_e32 vcc_lo, 31, v12
	s_wait_alu 0xfffd
	v_cndmask_b32_e32 v11, 0x7c00, v11, vcc_lo
	v_cmp_eq_u32_e32 vcc_lo, 0x40f, v13
	s_wait_alu 0xfffd
	v_cndmask_b32_e32 v0, v5, v0, vcc_lo
	v_cmp_eq_u32_e32 vcc_lo, 0x40f, v12
	s_delay_alu instid0(VALU_DEP_2) | instskip(SKIP_3) | instid1(VALU_DEP_3)
	v_and_or_b32 v0, 0x8000, v6, v0
	s_wait_alu 0xfffd
	v_cndmask_b32_e32 v7, v11, v7, vcc_lo
	v_lshlrev_b64_e32 v[5:6], 2, v[9:10]
	v_and_b32_e32 v0, 0xffff, v0
	s_delay_alu instid0(VALU_DEP_3) | instskip(NEXT) | instid1(VALU_DEP_3)
	v_and_or_b32 v7, 0x8000, v8, v7
	v_add_co_u32 v5, vcc_lo, v1, v5
	s_wait_alu 0xfffd
	s_delay_alu instid0(VALU_DEP_4) | instskip(NEXT) | instid1(VALU_DEP_3)
	v_add_co_ci_u32_e32 v6, vcc_lo, v2, v6, vcc_lo
	v_lshl_or_b32 v0, v7, 16, v0
	global_store_b32 v[5:6], v0, off
	global_load_b32 v0, v30, s[12:13] offset:960
	v_add_nc_u32_e32 v5, 0x200, v30
	ds_load_2addr_b32 v[5:6], v5 offset0:112 offset1:160
	s_wait_dscnt 0x0
	v_lshrrev_b32_e32 v7, 16, v5
	s_wait_loadcnt 0x0
	v_lshrrev_b32_e32 v8, 16, v0
	s_delay_alu instid0(VALU_DEP_1) | instskip(SKIP_1) | instid1(VALU_DEP_2)
	v_mul_f16_e32 v9, v7, v8
	v_mul_f16_e32 v8, v5, v8
	v_fmac_f16_e32 v9, v5, v0
	s_delay_alu instid0(VALU_DEP_2) | instskip(NEXT) | instid1(VALU_DEP_2)
	v_fma_f16 v0, v0, v7, -v8
	v_cvt_f32_f16_e32 v5, v9
	s_delay_alu instid0(VALU_DEP_2) | instskip(NEXT) | instid1(VALU_DEP_2)
	v_cvt_f32_f16_e32 v0, v0
	v_cvt_f64_f32_e32 v[7:8], v5
	s_delay_alu instid0(VALU_DEP_2) | instskip(NEXT) | instid1(VALU_DEP_2)
	v_cvt_f64_f32_e32 v[9:10], v0
	v_mul_f64_e32 v[7:8], s[8:9], v[7:8]
	s_delay_alu instid0(VALU_DEP_2) | instskip(NEXT) | instid1(VALU_DEP_2)
	v_mul_f64_e32 v[9:10], s[8:9], v[9:10]
	v_and_or_b32 v0, 0x1ff, v8, v7
	s_delay_alu instid0(VALU_DEP_2)
	v_and_or_b32 v9, 0x1ff, v10, v9
	v_lshrrev_b32_e32 v5, 8, v8
	v_bfe_u32 v7, v8, 20, 11
	v_lshrrev_b32_e32 v11, 8, v10
	v_cmp_ne_u32_e32 vcc_lo, 0, v0
	v_bfe_u32 v12, v10, 20, 11
	v_lshrrev_b32_e32 v8, 16, v8
	v_sub_nc_u32_e32 v13, 0x3f1, v7
	v_add_nc_u32_e32 v7, 0xfffffc10, v7
	s_wait_alu 0xfffd
	v_cndmask_b32_e64 v0, 0, 1, vcc_lo
	v_cmp_ne_u32_e32 vcc_lo, 0, v9
	s_delay_alu instid0(VALU_DEP_2) | instskip(SKIP_4) | instid1(VALU_DEP_3)
	v_and_or_b32 v0, 0xffe, v5, v0
	s_wait_alu 0xfffd
	v_cndmask_b32_e64 v9, 0, 1, vcc_lo
	v_sub_nc_u32_e32 v5, 0x3f1, v12
	v_add_nc_u32_e32 v12, 0xfffffc10, v12
	v_and_or_b32 v9, 0xffe, v11, v9
	v_med3_i32 v11, v13, 0, 13
	v_or_b32_e32 v13, 0x1000, v0
	v_med3_i32 v5, v5, 0, 13
	s_delay_alu instid0(VALU_DEP_4) | instskip(NEXT) | instid1(VALU_DEP_3)
	v_or_b32_e32 v14, 0x1000, v9
	v_lshrrev_b32_e32 v15, v11, v13
	s_delay_alu instid0(VALU_DEP_2) | instskip(NEXT) | instid1(VALU_DEP_2)
	v_lshrrev_b32_e32 v16, v5, v14
	v_lshlrev_b32_e32 v11, v11, v15
	s_delay_alu instid0(VALU_DEP_2) | instskip(NEXT) | instid1(VALU_DEP_2)
	v_lshlrev_b32_e32 v5, v5, v16
	v_cmp_ne_u32_e32 vcc_lo, v11, v13
	v_lshl_or_b32 v13, v7, 12, v0
	s_wait_alu 0xfffd
	v_cndmask_b32_e64 v11, 0, 1, vcc_lo
	v_cmp_ne_u32_e32 vcc_lo, v5, v14
	v_lshl_or_b32 v14, v12, 12, v9
	s_delay_alu instid0(VALU_DEP_3) | instskip(SKIP_3) | instid1(VALU_DEP_2)
	v_or_b32_e32 v11, v15, v11
	s_wait_alu 0xfffd
	v_cndmask_b32_e64 v5, 0, 1, vcc_lo
	v_cmp_gt_i32_e32 vcc_lo, 1, v7
	v_or_b32_e32 v5, v16, v5
	s_wait_alu 0xfffd
	v_cndmask_b32_e32 v11, v13, v11, vcc_lo
	v_cmp_gt_i32_e32 vcc_lo, 1, v12
	s_wait_alu 0xfffd
	v_cndmask_b32_e32 v5, v14, v5, vcc_lo
	v_cmp_ne_u32_e32 vcc_lo, 0, v0
	s_delay_alu instid0(VALU_DEP_2)
	v_and_b32_e32 v14, 7, v5
	s_wait_alu 0xfffd
	v_cndmask_b32_e64 v0, 0, 1, vcc_lo
	v_and_b32_e32 v13, 7, v11
	v_cmp_ne_u32_e32 vcc_lo, 0, v9
	v_lshrrev_b32_e32 v11, 2, v11
	v_cmp_lt_i32_e64 s1, 5, v14
	v_cmp_eq_u32_e64 s2, 3, v14
	v_cmp_eq_u32_e64 s0, 3, v13
	s_wait_alu 0xfffd
	v_cndmask_b32_e64 v9, 0, 1, vcc_lo
	v_cmp_lt_i32_e32 vcc_lo, 5, v13
	v_lshrrev_b32_e32 v5, 2, v5
	v_lshl_or_b32 v0, v0, 9, 0x7c00
	s_delay_alu instid0(VALU_DEP_4)
	v_lshl_or_b32 v9, v9, 9, 0x7c00
	s_or_b32 vcc_lo, s0, vcc_lo
	s_wait_alu 0xfffe
	v_add_co_ci_u32_e32 v11, vcc_lo, 0, v11, vcc_lo
	s_or_b32 vcc_lo, s2, s1
	s_wait_alu 0xfffe
	v_add_co_ci_u32_e32 v5, vcc_lo, 0, v5, vcc_lo
	v_cmp_gt_i32_e32 vcc_lo, 31, v7
	s_wait_alu 0xfffd
	v_cndmask_b32_e32 v11, 0x7c00, v11, vcc_lo
	v_cmp_gt_i32_e32 vcc_lo, 31, v12
	s_wait_alu 0xfffd
	v_cndmask_b32_e32 v5, 0x7c00, v5, vcc_lo
	v_cmp_eq_u32_e32 vcc_lo, 0x40f, v7
	v_lshrrev_b32_e32 v7, 16, v10
	s_wait_alu 0xfffd
	v_cndmask_b32_e32 v0, v11, v0, vcc_lo
	v_cmp_eq_u32_e32 vcc_lo, 0x40f, v12
	s_delay_alu instid0(VALU_DEP_2)
	v_and_or_b32 v0, 0x8000, v8, v0
	s_wait_alu 0xfffd
	v_cndmask_b32_e32 v5, v5, v9, vcc_lo
	v_add_co_u32 v3, vcc_lo, v3, s10
	s_wait_alu 0xfffd
	v_add_co_ci_u32_e32 v4, vcc_lo, s11, v4, vcc_lo
	s_delay_alu instid0(VALU_DEP_3) | instskip(SKIP_1) | instid1(VALU_DEP_1)
	v_and_or_b32 v5, 0x8000, v7, v5
	v_and_b32_e32 v0, 0xffff, v0
	v_lshl_or_b32 v0, v5, 16, v0
	v_lshrrev_b32_e32 v5, 16, v6
	global_store_b32 v[3:4], v0, off
	global_load_b32 v0, v30, s[12:13] offset:1152
	s_wait_loadcnt 0x0
	v_lshrrev_b32_e32 v7, 16, v0
	s_delay_alu instid0(VALU_DEP_1) | instskip(SKIP_1) | instid1(VALU_DEP_2)
	v_mul_f16_e32 v8, v5, v7
	v_mul_f16_e32 v7, v6, v7
	v_fmac_f16_e32 v8, v6, v0
	s_delay_alu instid0(VALU_DEP_2) | instskip(NEXT) | instid1(VALU_DEP_2)
	v_fma_f16 v0, v0, v5, -v7
	v_cvt_f32_f16_e32 v5, v8
	s_delay_alu instid0(VALU_DEP_2) | instskip(NEXT) | instid1(VALU_DEP_2)
	v_cvt_f32_f16_e32 v0, v0
	v_cvt_f64_f32_e32 v[5:6], v5
	s_delay_alu instid0(VALU_DEP_2) | instskip(NEXT) | instid1(VALU_DEP_2)
	v_cvt_f64_f32_e32 v[7:8], v0
	v_mul_f64_e32 v[5:6], s[8:9], v[5:6]
	s_delay_alu instid0(VALU_DEP_2) | instskip(NEXT) | instid1(VALU_DEP_2)
	v_mul_f64_e32 v[7:8], s[8:9], v[7:8]
	v_and_or_b32 v0, 0x1ff, v6, v5
	s_delay_alu instid0(VALU_DEP_2)
	v_and_or_b32 v7, 0x1ff, v8, v7
	v_lshrrev_b32_e32 v5, 8, v6
	v_bfe_u32 v9, v6, 20, 11
	v_lshrrev_b32_e32 v10, 8, v8
	v_cmp_ne_u32_e32 vcc_lo, 0, v0
	v_bfe_u32 v11, v8, 20, 11
	v_lshrrev_b32_e32 v6, 16, v6
	v_sub_nc_u32_e32 v12, 0x3f1, v9
	v_add_nc_u32_e32 v9, 0xfffffc10, v9
	s_wait_alu 0xfffd
	v_cndmask_b32_e64 v0, 0, 1, vcc_lo
	v_cmp_ne_u32_e32 vcc_lo, 0, v7
	v_lshrrev_b32_e32 v8, 16, v8
	s_delay_alu instid0(VALU_DEP_3) | instskip(SKIP_4) | instid1(VALU_DEP_3)
	v_and_or_b32 v0, 0xffe, v5, v0
	s_wait_alu 0xfffd
	v_cndmask_b32_e64 v7, 0, 1, vcc_lo
	v_sub_nc_u32_e32 v5, 0x3f1, v11
	v_add_nc_u32_e32 v11, 0xfffffc10, v11
	v_and_or_b32 v7, 0xffe, v10, v7
	v_med3_i32 v10, v12, 0, 13
	v_or_b32_e32 v12, 0x1000, v0
	v_med3_i32 v5, v5, 0, 13
	s_delay_alu instid0(VALU_DEP_4) | instskip(NEXT) | instid1(VALU_DEP_3)
	v_or_b32_e32 v13, 0x1000, v7
	v_lshrrev_b32_e32 v14, v10, v12
	s_delay_alu instid0(VALU_DEP_2) | instskip(NEXT) | instid1(VALU_DEP_2)
	v_lshrrev_b32_e32 v15, v5, v13
	v_lshlrev_b32_e32 v10, v10, v14
	s_delay_alu instid0(VALU_DEP_2) | instskip(NEXT) | instid1(VALU_DEP_2)
	v_lshlrev_b32_e32 v5, v5, v15
	v_cmp_ne_u32_e32 vcc_lo, v10, v12
	v_lshl_or_b32 v12, v9, 12, v0
	s_wait_alu 0xfffd
	v_cndmask_b32_e64 v10, 0, 1, vcc_lo
	v_cmp_ne_u32_e32 vcc_lo, v5, v13
	v_lshl_or_b32 v13, v11, 12, v7
	s_delay_alu instid0(VALU_DEP_3) | instskip(SKIP_3) | instid1(VALU_DEP_2)
	v_or_b32_e32 v10, v14, v10
	s_wait_alu 0xfffd
	v_cndmask_b32_e64 v5, 0, 1, vcc_lo
	v_cmp_gt_i32_e32 vcc_lo, 1, v9
	v_or_b32_e32 v5, v15, v5
	s_wait_alu 0xfffd
	v_cndmask_b32_e32 v10, v12, v10, vcc_lo
	v_cmp_gt_i32_e32 vcc_lo, 1, v11
	s_wait_alu 0xfffd
	s_delay_alu instid0(VALU_DEP_2) | instskip(SKIP_2) | instid1(VALU_DEP_3)
	v_dual_cndmask_b32 v5, v13, v5 :: v_dual_and_b32 v12, 7, v10
	v_cmp_ne_u32_e32 vcc_lo, 0, v0
	v_lshrrev_b32_e32 v10, 2, v10
	v_cmp_eq_u32_e64 s0, 3, v12
	s_wait_alu 0xfffd
	v_cndmask_b32_e64 v0, 0, 1, vcc_lo
	v_cmp_ne_u32_e32 vcc_lo, 0, v7
	s_delay_alu instid0(VALU_DEP_2)
	v_lshl_or_b32 v0, v0, 9, 0x7c00
	s_wait_alu 0xfffd
	v_cndmask_b32_e64 v7, 0, 1, vcc_lo
	v_cmp_lt_i32_e32 vcc_lo, 5, v12
	v_add_nc_u32_e32 v12, 0x400, v30
	v_and_b32_e32 v13, 7, v5
	v_lshrrev_b32_e32 v5, 2, v5
	v_lshl_or_b32 v7, v7, 9, 0x7c00
	s_or_b32 vcc_lo, s0, vcc_lo
	s_delay_alu instid0(VALU_DEP_3) | instskip(SKIP_3) | instid1(VALU_DEP_2)
	v_cmp_lt_i32_e64 s1, 5, v13
	v_cmp_eq_u32_e64 s2, 3, v13
	s_wait_alu 0xfffe
	v_add_co_ci_u32_e32 v10, vcc_lo, 0, v10, vcc_lo
	s_or_b32 vcc_lo, s2, s1
	s_wait_alu 0xfffe
	v_add_co_ci_u32_e32 v5, vcc_lo, 0, v5, vcc_lo
	v_cmp_gt_i32_e32 vcc_lo, 31, v9
	s_wait_alu 0xfffd
	v_cndmask_b32_e32 v10, 0x7c00, v10, vcc_lo
	v_cmp_gt_i32_e32 vcc_lo, 31, v11
	s_wait_alu 0xfffd
	v_cndmask_b32_e32 v5, 0x7c00, v5, vcc_lo
	v_cmp_eq_u32_e32 vcc_lo, 0x40f, v9
	s_wait_alu 0xfffd
	v_cndmask_b32_e32 v0, v10, v0, vcc_lo
	v_cmp_eq_u32_e32 vcc_lo, 0x40f, v11
	s_delay_alu instid0(VALU_DEP_2)
	v_and_or_b32 v0, 0x8000, v6, v0
	s_wait_alu 0xfffd
	v_cndmask_b32_e32 v5, v5, v7, vcc_lo
	v_add_co_u32 v3, vcc_lo, v3, s6
	s_wait_alu 0xfffd
	v_add_co_ci_u32_e32 v4, vcc_lo, s7, v4, vcc_lo
	s_delay_alu instid0(VALU_DEP_3) | instskip(SKIP_1) | instid1(VALU_DEP_1)
	v_and_or_b32 v5, 0x8000, v8, v5
	v_and_b32_e32 v0, 0xffff, v0
	v_lshl_or_b32 v0, v5, 16, v0
	ds_load_2addr_b32 v[5:6], v12 offset0:80 offset1:128
	global_store_b32 v[3:4], v0, off
	global_load_b32 v0, v30, s[12:13] offset:1344
	s_wait_dscnt 0x0
	v_lshrrev_b32_e32 v7, 16, v5
	s_wait_loadcnt 0x0
	v_lshrrev_b32_e32 v8, 16, v0
	s_delay_alu instid0(VALU_DEP_1) | instskip(SKIP_1) | instid1(VALU_DEP_2)
	v_mul_f16_e32 v9, v7, v8
	v_mul_f16_e32 v8, v5, v8
	v_fmac_f16_e32 v9, v5, v0
	s_delay_alu instid0(VALU_DEP_2) | instskip(NEXT) | instid1(VALU_DEP_2)
	v_fma_f16 v0, v0, v7, -v8
	v_cvt_f32_f16_e32 v5, v9
	s_delay_alu instid0(VALU_DEP_2) | instskip(NEXT) | instid1(VALU_DEP_2)
	v_cvt_f32_f16_e32 v0, v0
	v_cvt_f64_f32_e32 v[7:8], v5
	s_delay_alu instid0(VALU_DEP_2) | instskip(NEXT) | instid1(VALU_DEP_2)
	v_cvt_f64_f32_e32 v[9:10], v0
	v_mul_f64_e32 v[7:8], s[8:9], v[7:8]
	s_delay_alu instid0(VALU_DEP_2) | instskip(NEXT) | instid1(VALU_DEP_2)
	v_mul_f64_e32 v[9:10], s[8:9], v[9:10]
	v_and_or_b32 v0, 0x1ff, v8, v7
	s_delay_alu instid0(VALU_DEP_2)
	v_and_or_b32 v9, 0x1ff, v10, v9
	v_lshrrev_b32_e32 v5, 8, v8
	v_bfe_u32 v7, v8, 20, 11
	v_lshrrev_b32_e32 v11, 8, v10
	v_cmp_ne_u32_e32 vcc_lo, 0, v0
	v_bfe_u32 v13, v10, 20, 11
	v_lshrrev_b32_e32 v8, 16, v8
	v_sub_nc_u32_e32 v14, 0x3f1, v7
	v_add_nc_u32_e32 v7, 0xfffffc10, v7
	s_wait_alu 0xfffd
	v_cndmask_b32_e64 v0, 0, 1, vcc_lo
	v_cmp_ne_u32_e32 vcc_lo, 0, v9
	s_delay_alu instid0(VALU_DEP_2) | instskip(SKIP_4) | instid1(VALU_DEP_3)
	v_and_or_b32 v0, 0xffe, v5, v0
	s_wait_alu 0xfffd
	v_cndmask_b32_e64 v9, 0, 1, vcc_lo
	v_sub_nc_u32_e32 v5, 0x3f1, v13
	v_add_nc_u32_e32 v13, 0xfffffc10, v13
	v_and_or_b32 v9, 0xffe, v11, v9
	v_med3_i32 v11, v14, 0, 13
	v_or_b32_e32 v14, 0x1000, v0
	v_med3_i32 v5, v5, 0, 13
	s_delay_alu instid0(VALU_DEP_4) | instskip(NEXT) | instid1(VALU_DEP_3)
	v_or_b32_e32 v15, 0x1000, v9
	v_lshrrev_b32_e32 v16, v11, v14
	s_delay_alu instid0(VALU_DEP_2) | instskip(NEXT) | instid1(VALU_DEP_2)
	v_lshrrev_b32_e32 v17, v5, v15
	v_lshlrev_b32_e32 v11, v11, v16
	s_delay_alu instid0(VALU_DEP_2) | instskip(NEXT) | instid1(VALU_DEP_2)
	v_lshlrev_b32_e32 v5, v5, v17
	v_cmp_ne_u32_e32 vcc_lo, v11, v14
	v_lshl_or_b32 v14, v7, 12, v0
	s_wait_alu 0xfffd
	v_cndmask_b32_e64 v11, 0, 1, vcc_lo
	v_cmp_ne_u32_e32 vcc_lo, v5, v15
	v_lshl_or_b32 v15, v13, 12, v9
	s_delay_alu instid0(VALU_DEP_3) | instskip(SKIP_3) | instid1(VALU_DEP_2)
	v_or_b32_e32 v11, v16, v11
	s_wait_alu 0xfffd
	v_cndmask_b32_e64 v5, 0, 1, vcc_lo
	v_cmp_gt_i32_e32 vcc_lo, 1, v7
	v_or_b32_e32 v5, v17, v5
	s_wait_alu 0xfffd
	v_cndmask_b32_e32 v11, v14, v11, vcc_lo
	v_cmp_gt_i32_e32 vcc_lo, 1, v13
	s_wait_alu 0xfffd
	s_delay_alu instid0(VALU_DEP_2) | instskip(SKIP_2) | instid1(VALU_DEP_3)
	v_dual_cndmask_b32 v5, v15, v5 :: v_dual_and_b32 v14, 7, v11
	v_cmp_ne_u32_e32 vcc_lo, 0, v0
	v_lshrrev_b32_e32 v11, 2, v11
	v_cmp_eq_u32_e64 s0, 3, v14
	s_delay_alu instid0(VALU_DEP_4)
	v_and_b32_e32 v15, 7, v5
	s_wait_alu 0xfffd
	v_cndmask_b32_e64 v0, 0, 1, vcc_lo
	v_cmp_ne_u32_e32 vcc_lo, 0, v9
	v_lshrrev_b32_e32 v5, 2, v5
	v_cmp_lt_i32_e64 s1, 5, v15
	v_cmp_eq_u32_e64 s2, 3, v15
	s_wait_alu 0xfffd
	v_cndmask_b32_e64 v9, 0, 1, vcc_lo
	v_cmp_lt_i32_e32 vcc_lo, 5, v14
	v_lshl_or_b32 v0, v0, 9, 0x7c00
	s_delay_alu instid0(VALU_DEP_3)
	v_lshl_or_b32 v9, v9, 9, 0x7c00
	s_or_b32 vcc_lo, s0, vcc_lo
	s_wait_alu 0xfffe
	v_add_co_ci_u32_e32 v11, vcc_lo, 0, v11, vcc_lo
	s_or_b32 vcc_lo, s2, s1
	s_wait_alu 0xfffe
	v_add_co_ci_u32_e32 v5, vcc_lo, 0, v5, vcc_lo
	v_cmp_gt_i32_e32 vcc_lo, 31, v7
	s_wait_alu 0xfffd
	v_cndmask_b32_e32 v11, 0x7c00, v11, vcc_lo
	v_cmp_gt_i32_e32 vcc_lo, 31, v13
	s_wait_alu 0xfffd
	v_cndmask_b32_e32 v5, 0x7c00, v5, vcc_lo
	v_cmp_eq_u32_e32 vcc_lo, 0x40f, v7
	v_lshrrev_b32_e32 v7, 16, v10
	s_wait_alu 0xfffd
	v_cndmask_b32_e32 v0, v11, v0, vcc_lo
	v_cmp_eq_u32_e32 vcc_lo, 0x40f, v13
	s_delay_alu instid0(VALU_DEP_2)
	v_and_or_b32 v0, 0x8000, v8, v0
	s_wait_alu 0xfffd
	v_cndmask_b32_e32 v5, v5, v9, vcc_lo
	v_add_co_u32 v3, vcc_lo, v3, s6
	s_wait_alu 0xfffd
	v_add_co_ci_u32_e32 v4, vcc_lo, s7, v4, vcc_lo
	s_delay_alu instid0(VALU_DEP_3) | instskip(SKIP_1) | instid1(VALU_DEP_1)
	v_and_or_b32 v5, 0x8000, v7, v5
	v_and_b32_e32 v0, 0xffff, v0
	v_lshl_or_b32 v0, v5, 16, v0
	v_lshrrev_b32_e32 v5, 16, v6
	global_store_b32 v[3:4], v0, off
	global_load_b32 v0, v30, s[12:13] offset:1536
	s_wait_loadcnt 0x0
	v_lshrrev_b32_e32 v7, 16, v0
	s_delay_alu instid0(VALU_DEP_1) | instskip(SKIP_1) | instid1(VALU_DEP_2)
	v_mul_f16_e32 v8, v5, v7
	v_mul_f16_e32 v7, v6, v7
	v_fmac_f16_e32 v8, v6, v0
	s_delay_alu instid0(VALU_DEP_2) | instskip(NEXT) | instid1(VALU_DEP_2)
	v_fma_f16 v0, v0, v5, -v7
	v_cvt_f32_f16_e32 v5, v8
	s_delay_alu instid0(VALU_DEP_2) | instskip(NEXT) | instid1(VALU_DEP_2)
	v_cvt_f32_f16_e32 v0, v0
	v_cvt_f64_f32_e32 v[5:6], v5
	s_delay_alu instid0(VALU_DEP_2) | instskip(NEXT) | instid1(VALU_DEP_2)
	v_cvt_f64_f32_e32 v[7:8], v0
	v_mul_f64_e32 v[5:6], s[8:9], v[5:6]
	s_delay_alu instid0(VALU_DEP_2) | instskip(NEXT) | instid1(VALU_DEP_2)
	v_mul_f64_e32 v[7:8], s[8:9], v[7:8]
	v_and_or_b32 v0, 0x1ff, v6, v5
	s_delay_alu instid0(VALU_DEP_2)
	v_and_or_b32 v7, 0x1ff, v8, v7
	v_lshrrev_b32_e32 v5, 8, v6
	v_bfe_u32 v11, v6, 20, 11
	v_lshrrev_b32_e32 v9, 8, v8
	v_cmp_ne_u32_e32 vcc_lo, 0, v0
	v_bfe_u32 v13, v8, 20, 11
	v_lshrrev_b32_e32 v8, 16, v8
	v_sub_nc_u32_e32 v10, 0x3f1, v11
	s_wait_alu 0xfffd
	v_cndmask_b32_e64 v0, 0, 1, vcc_lo
	v_cmp_ne_u32_e32 vcc_lo, 0, v7
	v_sub_nc_u32_e32 v14, 0x3f1, v13
	v_add_nc_u32_e32 v13, 0xfffffc10, v13
	s_delay_alu instid0(VALU_DEP_4)
	v_and_or_b32 v0, 0xffe, v5, v0
	s_wait_alu 0xfffd
	v_cndmask_b32_e64 v7, 0, 1, vcc_lo
	v_med3_i32 v5, v10, 0, 13
	v_med3_i32 v14, v14, 0, 13
	v_or_b32_e32 v15, 0x1000, v0
	s_delay_alu instid0(VALU_DEP_4) | instskip(SKIP_1) | instid1(VALU_DEP_3)
	v_and_or_b32 v7, 0xffe, v9, v7
	v_mad_co_u64_u32 v[9:10], null, s4, v225, 0
	v_lshrrev_b32_e32 v17, v5, v15
	s_delay_alu instid0(VALU_DEP_3) | instskip(NEXT) | instid1(VALU_DEP_2)
	v_or_b32_e32 v16, 0x1000, v7
	v_lshlrev_b32_e32 v19, v5, v17
	s_delay_alu instid0(VALU_DEP_2) | instskip(SKIP_1) | instid1(VALU_DEP_3)
	v_lshrrev_b32_e32 v18, v14, v16
	v_mov_b32_e32 v5, v10
	v_cmp_ne_u32_e32 vcc_lo, v19, v15
	s_delay_alu instid0(VALU_DEP_3) | instskip(SKIP_3) | instid1(VALU_DEP_3)
	v_lshlrev_b32_e32 v10, v14, v18
	v_add_nc_u32_e32 v14, 0xfffffc10, v11
	s_wait_alu 0xfffd
	v_cndmask_b32_e64 v15, 0, 1, vcc_lo
	v_cmp_ne_u32_e32 vcc_lo, v10, v16
	v_mad_co_u64_u32 v[10:11], null, s5, v225, v[5:6]
	v_lshl_or_b32 v5, v14, 12, v0
	s_delay_alu instid0(VALU_DEP_4)
	v_or_b32_e32 v11, v17, v15
	s_wait_alu 0xfffd
	v_cndmask_b32_e64 v16, 0, 1, vcc_lo
	v_cmp_gt_i32_e32 vcc_lo, 1, v14
	v_lshl_or_b32 v15, v13, 12, v7
	v_lshrrev_b32_e32 v6, 16, v6
	s_delay_alu instid0(VALU_DEP_4)
	v_or_b32_e32 v16, v18, v16
	s_wait_alu 0xfffd
	v_cndmask_b32_e32 v5, v5, v11, vcc_lo
	v_cmp_gt_i32_e32 vcc_lo, 1, v13
	s_wait_alu 0xfffd
	v_cndmask_b32_e32 v11, v15, v16, vcc_lo
	v_cmp_ne_u32_e32 vcc_lo, 0, v0
	v_and_b32_e32 v15, 7, v5
	v_lshrrev_b32_e32 v5, 2, v5
	s_delay_alu instid0(VALU_DEP_4)
	v_and_b32_e32 v16, 7, v11
	s_wait_alu 0xfffd
	v_cndmask_b32_e64 v0, 0, 1, vcc_lo
	v_cmp_ne_u32_e32 vcc_lo, 0, v7
	v_cmp_eq_u32_e64 s0, 3, v15
	v_lshrrev_b32_e32 v11, 2, v11
	v_cmp_lt_i32_e64 s1, 5, v16
	v_cmp_eq_u32_e64 s2, 3, v16
	s_wait_alu 0xfffd
	v_cndmask_b32_e64 v7, 0, 1, vcc_lo
	v_cmp_lt_i32_e32 vcc_lo, 5, v15
	v_lshl_or_b32 v0, v0, 9, 0x7c00
	s_delay_alu instid0(VALU_DEP_3)
	v_lshl_or_b32 v7, v7, 9, 0x7c00
	s_or_b32 vcc_lo, s0, vcc_lo
	s_wait_alu 0xfffe
	v_add_co_ci_u32_e32 v5, vcc_lo, 0, v5, vcc_lo
	s_or_b32 vcc_lo, s2, s1
	s_wait_alu 0xfffe
	v_add_co_ci_u32_e32 v11, vcc_lo, 0, v11, vcc_lo
	v_cmp_gt_i32_e32 vcc_lo, 31, v14
	s_wait_alu 0xfffd
	v_cndmask_b32_e32 v5, 0x7c00, v5, vcc_lo
	v_cmp_gt_i32_e32 vcc_lo, 31, v13
	s_wait_alu 0xfffd
	v_cndmask_b32_e32 v11, 0x7c00, v11, vcc_lo
	v_cmp_eq_u32_e32 vcc_lo, 0x40f, v14
	s_wait_alu 0xfffd
	v_cndmask_b32_e32 v0, v5, v0, vcc_lo
	v_cmp_eq_u32_e32 vcc_lo, 0x40f, v13
	s_delay_alu instid0(VALU_DEP_2) | instskip(SKIP_3) | instid1(VALU_DEP_3)
	v_and_or_b32 v0, 0x8000, v6, v0
	s_wait_alu 0xfffd
	v_cndmask_b32_e32 v7, v11, v7, vcc_lo
	v_lshlrev_b64_e32 v[5:6], 2, v[9:10]
	v_and_b32_e32 v0, 0xffff, v0
	s_delay_alu instid0(VALU_DEP_3) | instskip(NEXT) | instid1(VALU_DEP_3)
	v_and_or_b32 v7, 0x8000, v8, v7
	v_add_co_u32 v5, vcc_lo, v1, v5
	s_wait_alu 0xfffd
	s_delay_alu instid0(VALU_DEP_4) | instskip(NEXT) | instid1(VALU_DEP_3)
	v_add_co_ci_u32_e32 v6, vcc_lo, v2, v6, vcc_lo
	v_lshl_or_b32 v0, v7, 16, v0
	global_store_b32 v[5:6], v0, off
	global_load_b32 v0, v30, s[12:13] offset:1728
	ds_load_2addr_b32 v[5:6], v12 offset0:176 offset1:224
	s_wait_dscnt 0x0
	v_lshrrev_b32_e32 v7, 16, v5
	s_wait_loadcnt 0x0
	v_lshrrev_b32_e32 v8, 16, v0
	s_delay_alu instid0(VALU_DEP_1) | instskip(SKIP_1) | instid1(VALU_DEP_2)
	v_mul_f16_e32 v9, v7, v8
	v_mul_f16_e32 v8, v5, v8
	v_fmac_f16_e32 v9, v5, v0
	s_delay_alu instid0(VALU_DEP_2) | instskip(NEXT) | instid1(VALU_DEP_2)
	v_fma_f16 v0, v0, v7, -v8
	v_cvt_f32_f16_e32 v5, v9
	s_delay_alu instid0(VALU_DEP_2) | instskip(NEXT) | instid1(VALU_DEP_2)
	v_cvt_f32_f16_e32 v0, v0
	v_cvt_f64_f32_e32 v[7:8], v5
	s_delay_alu instid0(VALU_DEP_2) | instskip(NEXT) | instid1(VALU_DEP_2)
	v_cvt_f64_f32_e32 v[9:10], v0
	v_mul_f64_e32 v[7:8], s[8:9], v[7:8]
	s_delay_alu instid0(VALU_DEP_2) | instskip(NEXT) | instid1(VALU_DEP_2)
	v_mul_f64_e32 v[9:10], s[8:9], v[9:10]
	v_and_or_b32 v0, 0x1ff, v8, v7
	s_delay_alu instid0(VALU_DEP_2)
	v_and_or_b32 v9, 0x1ff, v10, v9
	v_lshrrev_b32_e32 v5, 8, v8
	v_bfe_u32 v7, v8, 20, 11
	v_lshrrev_b32_e32 v11, 8, v10
	v_cmp_ne_u32_e32 vcc_lo, 0, v0
	v_bfe_u32 v12, v10, 20, 11
	v_lshrrev_b32_e32 v8, 16, v8
	v_sub_nc_u32_e32 v13, 0x3f1, v7
	v_add_nc_u32_e32 v7, 0xfffffc10, v7
	s_wait_alu 0xfffd
	v_cndmask_b32_e64 v0, 0, 1, vcc_lo
	v_cmp_ne_u32_e32 vcc_lo, 0, v9
	s_delay_alu instid0(VALU_DEP_2) | instskip(SKIP_4) | instid1(VALU_DEP_3)
	v_and_or_b32 v0, 0xffe, v5, v0
	s_wait_alu 0xfffd
	v_cndmask_b32_e64 v9, 0, 1, vcc_lo
	v_sub_nc_u32_e32 v5, 0x3f1, v12
	v_add_nc_u32_e32 v12, 0xfffffc10, v12
	v_and_or_b32 v9, 0xffe, v11, v9
	v_med3_i32 v11, v13, 0, 13
	v_or_b32_e32 v13, 0x1000, v0
	v_med3_i32 v5, v5, 0, 13
	s_delay_alu instid0(VALU_DEP_4) | instskip(NEXT) | instid1(VALU_DEP_3)
	v_or_b32_e32 v14, 0x1000, v9
	v_lshrrev_b32_e32 v15, v11, v13
	s_delay_alu instid0(VALU_DEP_2) | instskip(NEXT) | instid1(VALU_DEP_2)
	v_lshrrev_b32_e32 v16, v5, v14
	v_lshlrev_b32_e32 v11, v11, v15
	s_delay_alu instid0(VALU_DEP_2) | instskip(NEXT) | instid1(VALU_DEP_2)
	v_lshlrev_b32_e32 v5, v5, v16
	v_cmp_ne_u32_e32 vcc_lo, v11, v13
	v_lshl_or_b32 v13, v7, 12, v0
	s_wait_alu 0xfffd
	v_cndmask_b32_e64 v11, 0, 1, vcc_lo
	v_cmp_ne_u32_e32 vcc_lo, v5, v14
	v_lshl_or_b32 v14, v12, 12, v9
	s_delay_alu instid0(VALU_DEP_3) | instskip(SKIP_3) | instid1(VALU_DEP_2)
	v_or_b32_e32 v11, v15, v11
	s_wait_alu 0xfffd
	v_cndmask_b32_e64 v5, 0, 1, vcc_lo
	v_cmp_gt_i32_e32 vcc_lo, 1, v7
	v_or_b32_e32 v5, v16, v5
	s_wait_alu 0xfffd
	v_cndmask_b32_e32 v11, v13, v11, vcc_lo
	v_cmp_gt_i32_e32 vcc_lo, 1, v12
	s_delay_alu instid0(VALU_DEP_2)
	v_and_b32_e32 v13, 7, v11
	s_wait_alu 0xfffd
	v_cndmask_b32_e32 v5, v14, v5, vcc_lo
	v_cmp_ne_u32_e32 vcc_lo, 0, v0
	v_lshrrev_b32_e32 v11, 2, v11
	v_cmp_eq_u32_e64 s0, 3, v13
	s_delay_alu instid0(VALU_DEP_4)
	v_and_b32_e32 v14, 7, v5
	s_wait_alu 0xfffd
	v_cndmask_b32_e64 v0, 0, 1, vcc_lo
	v_cmp_ne_u32_e32 vcc_lo, 0, v9
	v_lshrrev_b32_e32 v5, 2, v5
	v_cmp_lt_i32_e64 s1, 5, v14
	v_cmp_eq_u32_e64 s2, 3, v14
	s_wait_alu 0xfffd
	v_cndmask_b32_e64 v9, 0, 1, vcc_lo
	v_cmp_lt_i32_e32 vcc_lo, 5, v13
	v_lshl_or_b32 v0, v0, 9, 0x7c00
	s_delay_alu instid0(VALU_DEP_3)
	v_lshl_or_b32 v9, v9, 9, 0x7c00
	s_or_b32 vcc_lo, s0, vcc_lo
	s_wait_alu 0xfffe
	v_add_co_ci_u32_e32 v11, vcc_lo, 0, v11, vcc_lo
	s_or_b32 vcc_lo, s2, s1
	s_wait_alu 0xfffe
	v_add_co_ci_u32_e32 v5, vcc_lo, 0, v5, vcc_lo
	v_cmp_gt_i32_e32 vcc_lo, 31, v7
	s_wait_alu 0xfffd
	v_cndmask_b32_e32 v11, 0x7c00, v11, vcc_lo
	v_cmp_gt_i32_e32 vcc_lo, 31, v12
	s_wait_alu 0xfffd
	v_cndmask_b32_e32 v5, 0x7c00, v5, vcc_lo
	v_cmp_eq_u32_e32 vcc_lo, 0x40f, v7
	v_lshrrev_b32_e32 v7, 16, v10
	s_wait_alu 0xfffd
	v_cndmask_b32_e32 v0, v11, v0, vcc_lo
	v_cmp_eq_u32_e32 vcc_lo, 0x40f, v12
	s_delay_alu instid0(VALU_DEP_2)
	v_and_or_b32 v0, 0x8000, v8, v0
	s_wait_alu 0xfffd
	v_cndmask_b32_e32 v5, v5, v9, vcc_lo
	v_add_co_u32 v3, vcc_lo, v3, s10
	s_wait_alu 0xfffd
	v_add_co_ci_u32_e32 v4, vcc_lo, s11, v4, vcc_lo
	s_delay_alu instid0(VALU_DEP_3) | instskip(SKIP_1) | instid1(VALU_DEP_1)
	v_and_or_b32 v5, 0x8000, v7, v5
	v_and_b32_e32 v0, 0xffff, v0
	v_lshl_or_b32 v0, v5, 16, v0
	v_lshrrev_b32_e32 v5, 16, v6
	global_store_b32 v[3:4], v0, off
	global_load_b32 v0, v30, s[12:13] offset:1920
	s_wait_loadcnt 0x0
	v_lshrrev_b32_e32 v7, 16, v0
	s_delay_alu instid0(VALU_DEP_1) | instskip(SKIP_1) | instid1(VALU_DEP_2)
	v_mul_f16_e32 v8, v5, v7
	v_mul_f16_e32 v7, v6, v7
	v_fmac_f16_e32 v8, v6, v0
	s_delay_alu instid0(VALU_DEP_2) | instskip(NEXT) | instid1(VALU_DEP_2)
	v_fma_f16 v0, v0, v5, -v7
	v_cvt_f32_f16_e32 v5, v8
	s_delay_alu instid0(VALU_DEP_2) | instskip(NEXT) | instid1(VALU_DEP_2)
	v_cvt_f32_f16_e32 v0, v0
	v_cvt_f64_f32_e32 v[5:6], v5
	s_delay_alu instid0(VALU_DEP_2) | instskip(NEXT) | instid1(VALU_DEP_2)
	v_cvt_f64_f32_e32 v[7:8], v0
	v_mul_f64_e32 v[5:6], s[8:9], v[5:6]
	s_delay_alu instid0(VALU_DEP_2) | instskip(NEXT) | instid1(VALU_DEP_2)
	v_mul_f64_e32 v[7:8], s[8:9], v[7:8]
	v_and_or_b32 v0, 0x1ff, v6, v5
	s_delay_alu instid0(VALU_DEP_2)
	v_and_or_b32 v7, 0x1ff, v8, v7
	v_lshrrev_b32_e32 v5, 8, v6
	v_bfe_u32 v9, v6, 20, 11
	v_lshrrev_b32_e32 v10, 8, v8
	v_cmp_ne_u32_e32 vcc_lo, 0, v0
	v_bfe_u32 v11, v8, 20, 11
	v_lshrrev_b32_e32 v6, 16, v6
	v_sub_nc_u32_e32 v12, 0x3f1, v9
	v_add_nc_u32_e32 v9, 0xfffffc10, v9
	s_wait_alu 0xfffd
	v_cndmask_b32_e64 v0, 0, 1, vcc_lo
	v_cmp_ne_u32_e32 vcc_lo, 0, v7
	v_lshrrev_b32_e32 v8, 16, v8
	s_delay_alu instid0(VALU_DEP_3) | instskip(SKIP_4) | instid1(VALU_DEP_3)
	v_and_or_b32 v0, 0xffe, v5, v0
	s_wait_alu 0xfffd
	v_cndmask_b32_e64 v7, 0, 1, vcc_lo
	v_sub_nc_u32_e32 v5, 0x3f1, v11
	v_add_nc_u32_e32 v11, 0xfffffc10, v11
	v_and_or_b32 v7, 0xffe, v10, v7
	v_med3_i32 v10, v12, 0, 13
	v_or_b32_e32 v12, 0x1000, v0
	v_med3_i32 v5, v5, 0, 13
	s_delay_alu instid0(VALU_DEP_4) | instskip(NEXT) | instid1(VALU_DEP_3)
	v_or_b32_e32 v13, 0x1000, v7
	v_lshrrev_b32_e32 v14, v10, v12
	s_delay_alu instid0(VALU_DEP_2) | instskip(NEXT) | instid1(VALU_DEP_2)
	v_lshrrev_b32_e32 v15, v5, v13
	v_lshlrev_b32_e32 v10, v10, v14
	s_delay_alu instid0(VALU_DEP_2) | instskip(NEXT) | instid1(VALU_DEP_2)
	v_lshlrev_b32_e32 v5, v5, v15
	v_cmp_ne_u32_e32 vcc_lo, v10, v12
	v_lshl_or_b32 v12, v9, 12, v0
	s_wait_alu 0xfffd
	v_cndmask_b32_e64 v10, 0, 1, vcc_lo
	v_cmp_ne_u32_e32 vcc_lo, v5, v13
	v_lshl_or_b32 v13, v11, 12, v7
	s_delay_alu instid0(VALU_DEP_3) | instskip(SKIP_3) | instid1(VALU_DEP_2)
	v_or_b32_e32 v10, v14, v10
	s_wait_alu 0xfffd
	v_cndmask_b32_e64 v5, 0, 1, vcc_lo
	v_cmp_gt_i32_e32 vcc_lo, 1, v9
	v_or_b32_e32 v5, v15, v5
	s_wait_alu 0xfffd
	v_cndmask_b32_e32 v10, v12, v10, vcc_lo
	v_cmp_gt_i32_e32 vcc_lo, 1, v11
	s_wait_alu 0xfffd
	s_delay_alu instid0(VALU_DEP_2) | instskip(SKIP_2) | instid1(VALU_DEP_3)
	v_dual_cndmask_b32 v5, v13, v5 :: v_dual_and_b32 v12, 7, v10
	v_cmp_ne_u32_e32 vcc_lo, 0, v0
	v_lshrrev_b32_e32 v10, 2, v10
	v_cmp_eq_u32_e64 s0, 3, v12
	s_delay_alu instid0(VALU_DEP_4)
	v_and_b32_e32 v13, 7, v5
	s_wait_alu 0xfffd
	v_cndmask_b32_e64 v0, 0, 1, vcc_lo
	v_cmp_ne_u32_e32 vcc_lo, 0, v7
	v_lshrrev_b32_e32 v5, 2, v5
	v_cmp_lt_i32_e64 s1, 5, v13
	v_cmp_eq_u32_e64 s2, 3, v13
	s_wait_alu 0xfffd
	v_cndmask_b32_e64 v7, 0, 1, vcc_lo
	v_cmp_lt_i32_e32 vcc_lo, 5, v12
	v_lshl_or_b32 v0, v0, 9, 0x7c00
	v_add_nc_u32_e32 v12, 0x800, v30
	s_delay_alu instid0(VALU_DEP_4)
	v_lshl_or_b32 v7, v7, 9, 0x7c00
	s_or_b32 vcc_lo, s0, vcc_lo
	s_wait_alu 0xfffe
	v_add_co_ci_u32_e32 v10, vcc_lo, 0, v10, vcc_lo
	s_or_b32 vcc_lo, s2, s1
	s_wait_alu 0xfffe
	v_add_co_ci_u32_e32 v5, vcc_lo, 0, v5, vcc_lo
	v_cmp_gt_i32_e32 vcc_lo, 31, v9
	s_wait_alu 0xfffd
	v_cndmask_b32_e32 v10, 0x7c00, v10, vcc_lo
	v_cmp_gt_i32_e32 vcc_lo, 31, v11
	s_wait_alu 0xfffd
	v_cndmask_b32_e32 v5, 0x7c00, v5, vcc_lo
	v_cmp_eq_u32_e32 vcc_lo, 0x40f, v9
	s_wait_alu 0xfffd
	v_cndmask_b32_e32 v0, v10, v0, vcc_lo
	v_cmp_eq_u32_e32 vcc_lo, 0x40f, v11
	s_delay_alu instid0(VALU_DEP_2)
	v_and_or_b32 v0, 0x8000, v6, v0
	s_wait_alu 0xfffd
	v_cndmask_b32_e32 v5, v5, v7, vcc_lo
	v_add_co_u32 v3, vcc_lo, v3, s6
	s_wait_alu 0xfffd
	v_add_co_ci_u32_e32 v4, vcc_lo, s7, v4, vcc_lo
	s_delay_alu instid0(VALU_DEP_3) | instskip(SKIP_1) | instid1(VALU_DEP_1)
	v_and_or_b32 v5, 0x8000, v8, v5
	v_and_b32_e32 v0, 0xffff, v0
	v_lshl_or_b32 v0, v5, 16, v0
	ds_load_2addr_b32 v[5:6], v12 offset0:16 offset1:64
	global_store_b32 v[3:4], v0, off
	global_load_b32 v0, v30, s[12:13] offset:2112
	s_wait_dscnt 0x0
	v_lshrrev_b32_e32 v7, 16, v5
	s_wait_loadcnt 0x0
	v_lshrrev_b32_e32 v8, 16, v0
	s_delay_alu instid0(VALU_DEP_1) | instskip(SKIP_1) | instid1(VALU_DEP_2)
	v_mul_f16_e32 v9, v7, v8
	v_mul_f16_e32 v8, v5, v8
	v_fmac_f16_e32 v9, v5, v0
	s_delay_alu instid0(VALU_DEP_2) | instskip(NEXT) | instid1(VALU_DEP_2)
	v_fma_f16 v0, v0, v7, -v8
	v_cvt_f32_f16_e32 v5, v9
	s_delay_alu instid0(VALU_DEP_2) | instskip(NEXT) | instid1(VALU_DEP_2)
	v_cvt_f32_f16_e32 v0, v0
	v_cvt_f64_f32_e32 v[7:8], v5
	s_delay_alu instid0(VALU_DEP_2) | instskip(NEXT) | instid1(VALU_DEP_2)
	v_cvt_f64_f32_e32 v[9:10], v0
	v_mul_f64_e32 v[7:8], s[8:9], v[7:8]
	s_delay_alu instid0(VALU_DEP_2) | instskip(NEXT) | instid1(VALU_DEP_2)
	v_mul_f64_e32 v[9:10], s[8:9], v[9:10]
	v_and_or_b32 v0, 0x1ff, v8, v7
	s_delay_alu instid0(VALU_DEP_2)
	v_and_or_b32 v9, 0x1ff, v10, v9
	v_lshrrev_b32_e32 v5, 8, v8
	v_bfe_u32 v7, v8, 20, 11
	v_lshrrev_b32_e32 v11, 8, v10
	v_cmp_ne_u32_e32 vcc_lo, 0, v0
	v_bfe_u32 v13, v10, 20, 11
	v_lshrrev_b32_e32 v8, 16, v8
	v_sub_nc_u32_e32 v14, 0x3f1, v7
	v_add_nc_u32_e32 v7, 0xfffffc10, v7
	s_wait_alu 0xfffd
	v_cndmask_b32_e64 v0, 0, 1, vcc_lo
	v_cmp_ne_u32_e32 vcc_lo, 0, v9
	s_delay_alu instid0(VALU_DEP_2) | instskip(SKIP_4) | instid1(VALU_DEP_3)
	v_and_or_b32 v0, 0xffe, v5, v0
	s_wait_alu 0xfffd
	v_cndmask_b32_e64 v9, 0, 1, vcc_lo
	v_sub_nc_u32_e32 v5, 0x3f1, v13
	v_add_nc_u32_e32 v13, 0xfffffc10, v13
	v_and_or_b32 v9, 0xffe, v11, v9
	v_med3_i32 v11, v14, 0, 13
	v_or_b32_e32 v14, 0x1000, v0
	v_med3_i32 v5, v5, 0, 13
	s_delay_alu instid0(VALU_DEP_4) | instskip(NEXT) | instid1(VALU_DEP_3)
	v_or_b32_e32 v15, 0x1000, v9
	v_lshrrev_b32_e32 v16, v11, v14
	s_delay_alu instid0(VALU_DEP_2) | instskip(NEXT) | instid1(VALU_DEP_2)
	v_lshrrev_b32_e32 v17, v5, v15
	v_lshlrev_b32_e32 v11, v11, v16
	s_delay_alu instid0(VALU_DEP_2) | instskip(NEXT) | instid1(VALU_DEP_2)
	v_lshlrev_b32_e32 v5, v5, v17
	v_cmp_ne_u32_e32 vcc_lo, v11, v14
	v_lshl_or_b32 v14, v7, 12, v0
	s_wait_alu 0xfffd
	v_cndmask_b32_e64 v11, 0, 1, vcc_lo
	v_cmp_ne_u32_e32 vcc_lo, v5, v15
	v_lshl_or_b32 v15, v13, 12, v9
	s_delay_alu instid0(VALU_DEP_3) | instskip(SKIP_3) | instid1(VALU_DEP_2)
	v_or_b32_e32 v11, v16, v11
	s_wait_alu 0xfffd
	v_cndmask_b32_e64 v5, 0, 1, vcc_lo
	v_cmp_gt_i32_e32 vcc_lo, 1, v7
	v_or_b32_e32 v5, v17, v5
	s_wait_alu 0xfffd
	v_cndmask_b32_e32 v11, v14, v11, vcc_lo
	v_cmp_gt_i32_e32 vcc_lo, 1, v13
	s_wait_alu 0xfffd
	s_delay_alu instid0(VALU_DEP_2) | instskip(SKIP_2) | instid1(VALU_DEP_3)
	v_dual_cndmask_b32 v5, v15, v5 :: v_dual_and_b32 v14, 7, v11
	v_cmp_ne_u32_e32 vcc_lo, 0, v0
	v_lshrrev_b32_e32 v11, 2, v11
	v_cmp_eq_u32_e64 s0, 3, v14
	s_delay_alu instid0(VALU_DEP_4)
	v_and_b32_e32 v15, 7, v5
	s_wait_alu 0xfffd
	v_cndmask_b32_e64 v0, 0, 1, vcc_lo
	v_cmp_ne_u32_e32 vcc_lo, 0, v9
	v_lshrrev_b32_e32 v5, 2, v5
	v_cmp_lt_i32_e64 s1, 5, v15
	v_cmp_eq_u32_e64 s2, 3, v15
	s_wait_alu 0xfffd
	v_cndmask_b32_e64 v9, 0, 1, vcc_lo
	v_cmp_lt_i32_e32 vcc_lo, 5, v14
	v_lshl_or_b32 v0, v0, 9, 0x7c00
	s_delay_alu instid0(VALU_DEP_3)
	v_lshl_or_b32 v9, v9, 9, 0x7c00
	s_or_b32 vcc_lo, s0, vcc_lo
	s_wait_alu 0xfffe
	v_add_co_ci_u32_e32 v11, vcc_lo, 0, v11, vcc_lo
	s_or_b32 vcc_lo, s2, s1
	s_wait_alu 0xfffe
	v_add_co_ci_u32_e32 v5, vcc_lo, 0, v5, vcc_lo
	v_cmp_gt_i32_e32 vcc_lo, 31, v7
	s_wait_alu 0xfffd
	v_cndmask_b32_e32 v11, 0x7c00, v11, vcc_lo
	v_cmp_gt_i32_e32 vcc_lo, 31, v13
	s_wait_alu 0xfffd
	v_cndmask_b32_e32 v5, 0x7c00, v5, vcc_lo
	v_cmp_eq_u32_e32 vcc_lo, 0x40f, v7
	v_lshrrev_b32_e32 v7, 16, v10
	s_wait_alu 0xfffd
	v_cndmask_b32_e32 v0, v11, v0, vcc_lo
	v_cmp_eq_u32_e32 vcc_lo, 0x40f, v13
	s_delay_alu instid0(VALU_DEP_2)
	v_and_or_b32 v0, 0x8000, v8, v0
	s_wait_alu 0xfffd
	v_cndmask_b32_e32 v5, v5, v9, vcc_lo
	v_add_co_u32 v3, vcc_lo, v3, s6
	s_wait_alu 0xfffd
	v_add_co_ci_u32_e32 v4, vcc_lo, s7, v4, vcc_lo
	s_delay_alu instid0(VALU_DEP_3) | instskip(SKIP_1) | instid1(VALU_DEP_1)
	v_and_or_b32 v5, 0x8000, v7, v5
	v_and_b32_e32 v0, 0xffff, v0
	v_lshl_or_b32 v0, v5, 16, v0
	v_lshrrev_b32_e32 v5, 16, v6
	global_store_b32 v[3:4], v0, off
	global_load_b32 v0, v30, s[12:13] offset:2304
	s_wait_loadcnt 0x0
	v_lshrrev_b32_e32 v7, 16, v0
	s_delay_alu instid0(VALU_DEP_1) | instskip(SKIP_1) | instid1(VALU_DEP_2)
	v_mul_f16_e32 v8, v5, v7
	v_mul_f16_e32 v7, v6, v7
	v_fmac_f16_e32 v8, v6, v0
	s_delay_alu instid0(VALU_DEP_2) | instskip(NEXT) | instid1(VALU_DEP_2)
	v_fma_f16 v0, v0, v5, -v7
	v_cvt_f32_f16_e32 v5, v8
	s_delay_alu instid0(VALU_DEP_2) | instskip(NEXT) | instid1(VALU_DEP_2)
	v_cvt_f32_f16_e32 v0, v0
	v_cvt_f64_f32_e32 v[5:6], v5
	s_delay_alu instid0(VALU_DEP_2) | instskip(NEXT) | instid1(VALU_DEP_2)
	v_cvt_f64_f32_e32 v[7:8], v0
	v_mul_f64_e32 v[5:6], s[8:9], v[5:6]
	s_delay_alu instid0(VALU_DEP_2) | instskip(NEXT) | instid1(VALU_DEP_2)
	v_mul_f64_e32 v[7:8], s[8:9], v[7:8]
	v_and_or_b32 v0, 0x1ff, v6, v5
	s_delay_alu instid0(VALU_DEP_2)
	v_and_or_b32 v7, 0x1ff, v8, v7
	v_lshrrev_b32_e32 v5, 8, v6
	v_bfe_u32 v11, v6, 20, 11
	v_lshrrev_b32_e32 v9, 8, v8
	v_cmp_ne_u32_e32 vcc_lo, 0, v0
	v_bfe_u32 v13, v8, 20, 11
	v_lshrrev_b32_e32 v8, 16, v8
	v_sub_nc_u32_e32 v10, 0x3f1, v11
	s_wait_alu 0xfffd
	v_cndmask_b32_e64 v0, 0, 1, vcc_lo
	v_cmp_ne_u32_e32 vcc_lo, 0, v7
	v_sub_nc_u32_e32 v14, 0x3f1, v13
	v_add_nc_u32_e32 v13, 0xfffffc10, v13
	s_delay_alu instid0(VALU_DEP_4)
	v_and_or_b32 v0, 0xffe, v5, v0
	s_wait_alu 0xfffd
	v_cndmask_b32_e64 v7, 0, 1, vcc_lo
	v_med3_i32 v5, v10, 0, 13
	v_med3_i32 v14, v14, 0, 13
	v_or_b32_e32 v15, 0x1000, v0
	s_delay_alu instid0(VALU_DEP_4) | instskip(SKIP_1) | instid1(VALU_DEP_3)
	v_and_or_b32 v7, 0xffe, v9, v7
	v_mad_co_u64_u32 v[9:10], null, s4, v224, 0
	v_lshrrev_b32_e32 v17, v5, v15
	s_delay_alu instid0(VALU_DEP_3) | instskip(NEXT) | instid1(VALU_DEP_2)
	v_or_b32_e32 v16, 0x1000, v7
	v_lshlrev_b32_e32 v19, v5, v17
	s_delay_alu instid0(VALU_DEP_2) | instskip(SKIP_1) | instid1(VALU_DEP_3)
	v_lshrrev_b32_e32 v18, v14, v16
	v_mov_b32_e32 v5, v10
	v_cmp_ne_u32_e32 vcc_lo, v19, v15
	s_delay_alu instid0(VALU_DEP_3) | instskip(SKIP_3) | instid1(VALU_DEP_3)
	v_lshlrev_b32_e32 v10, v14, v18
	v_add_nc_u32_e32 v14, 0xfffffc10, v11
	s_wait_alu 0xfffd
	v_cndmask_b32_e64 v15, 0, 1, vcc_lo
	v_cmp_ne_u32_e32 vcc_lo, v10, v16
	v_mad_co_u64_u32 v[10:11], null, s5, v224, v[5:6]
	v_lshl_or_b32 v5, v14, 12, v0
	s_delay_alu instid0(VALU_DEP_4)
	v_or_b32_e32 v11, v17, v15
	s_wait_alu 0xfffd
	v_cndmask_b32_e64 v16, 0, 1, vcc_lo
	v_cmp_gt_i32_e32 vcc_lo, 1, v14
	v_lshl_or_b32 v15, v13, 12, v7
	v_lshrrev_b32_e32 v6, 16, v6
	s_delay_alu instid0(VALU_DEP_4)
	v_or_b32_e32 v16, v18, v16
	s_wait_alu 0xfffd
	v_cndmask_b32_e32 v5, v5, v11, vcc_lo
	v_cmp_gt_i32_e32 vcc_lo, 1, v13
	s_wait_alu 0xfffd
	v_cndmask_b32_e32 v11, v15, v16, vcc_lo
	v_cmp_ne_u32_e32 vcc_lo, 0, v0
	v_and_b32_e32 v15, 7, v5
	v_lshrrev_b32_e32 v5, 2, v5
	s_delay_alu instid0(VALU_DEP_4)
	v_and_b32_e32 v16, 7, v11
	s_wait_alu 0xfffd
	v_cndmask_b32_e64 v0, 0, 1, vcc_lo
	v_cmp_ne_u32_e32 vcc_lo, 0, v7
	v_cmp_eq_u32_e64 s0, 3, v15
	v_lshrrev_b32_e32 v11, 2, v11
	v_cmp_lt_i32_e64 s1, 5, v16
	v_cmp_eq_u32_e64 s2, 3, v16
	s_wait_alu 0xfffd
	v_cndmask_b32_e64 v7, 0, 1, vcc_lo
	v_cmp_lt_i32_e32 vcc_lo, 5, v15
	v_lshl_or_b32 v0, v0, 9, 0x7c00
	s_delay_alu instid0(VALU_DEP_3)
	v_lshl_or_b32 v7, v7, 9, 0x7c00
	s_or_b32 vcc_lo, s0, vcc_lo
	s_wait_alu 0xfffe
	v_add_co_ci_u32_e32 v5, vcc_lo, 0, v5, vcc_lo
	s_or_b32 vcc_lo, s2, s1
	s_wait_alu 0xfffe
	v_add_co_ci_u32_e32 v11, vcc_lo, 0, v11, vcc_lo
	v_cmp_gt_i32_e32 vcc_lo, 31, v14
	s_wait_alu 0xfffd
	v_cndmask_b32_e32 v5, 0x7c00, v5, vcc_lo
	v_cmp_gt_i32_e32 vcc_lo, 31, v13
	s_wait_alu 0xfffd
	v_cndmask_b32_e32 v11, 0x7c00, v11, vcc_lo
	v_cmp_eq_u32_e32 vcc_lo, 0x40f, v14
	s_wait_alu 0xfffd
	v_cndmask_b32_e32 v0, v5, v0, vcc_lo
	v_cmp_eq_u32_e32 vcc_lo, 0x40f, v13
	s_delay_alu instid0(VALU_DEP_2) | instskip(SKIP_3) | instid1(VALU_DEP_3)
	v_and_or_b32 v0, 0x8000, v6, v0
	s_wait_alu 0xfffd
	v_cndmask_b32_e32 v7, v11, v7, vcc_lo
	v_lshlrev_b64_e32 v[5:6], 2, v[9:10]
	v_and_b32_e32 v0, 0xffff, v0
	s_delay_alu instid0(VALU_DEP_3) | instskip(NEXT) | instid1(VALU_DEP_3)
	v_and_or_b32 v7, 0x8000, v8, v7
	v_add_co_u32 v5, vcc_lo, v1, v5
	s_wait_alu 0xfffd
	s_delay_alu instid0(VALU_DEP_4) | instskip(NEXT) | instid1(VALU_DEP_3)
	v_add_co_ci_u32_e32 v6, vcc_lo, v2, v6, vcc_lo
	v_lshl_or_b32 v0, v7, 16, v0
	global_store_b32 v[5:6], v0, off
	global_load_b32 v0, v30, s[12:13] offset:2496
	ds_load_2addr_b32 v[5:6], v12 offset0:112 offset1:160
	s_wait_dscnt 0x0
	v_lshrrev_b32_e32 v7, 16, v5
	s_wait_loadcnt 0x0
	v_lshrrev_b32_e32 v8, 16, v0
	s_delay_alu instid0(VALU_DEP_1) | instskip(SKIP_1) | instid1(VALU_DEP_2)
	v_mul_f16_e32 v9, v7, v8
	v_mul_f16_e32 v8, v5, v8
	v_fmac_f16_e32 v9, v5, v0
	s_delay_alu instid0(VALU_DEP_2) | instskip(NEXT) | instid1(VALU_DEP_2)
	v_fma_f16 v0, v0, v7, -v8
	v_cvt_f32_f16_e32 v5, v9
	s_delay_alu instid0(VALU_DEP_2) | instskip(NEXT) | instid1(VALU_DEP_2)
	v_cvt_f32_f16_e32 v0, v0
	v_cvt_f64_f32_e32 v[7:8], v5
	s_delay_alu instid0(VALU_DEP_2) | instskip(NEXT) | instid1(VALU_DEP_2)
	v_cvt_f64_f32_e32 v[9:10], v0
	v_mul_f64_e32 v[7:8], s[8:9], v[7:8]
	s_delay_alu instid0(VALU_DEP_2) | instskip(NEXT) | instid1(VALU_DEP_2)
	v_mul_f64_e32 v[9:10], s[8:9], v[9:10]
	v_and_or_b32 v0, 0x1ff, v8, v7
	s_delay_alu instid0(VALU_DEP_2)
	v_and_or_b32 v9, 0x1ff, v10, v9
	v_lshrrev_b32_e32 v5, 8, v8
	v_bfe_u32 v7, v8, 20, 11
	v_lshrrev_b32_e32 v11, 8, v10
	v_cmp_ne_u32_e32 vcc_lo, 0, v0
	v_bfe_u32 v12, v10, 20, 11
	v_lshrrev_b32_e32 v8, 16, v8
	v_sub_nc_u32_e32 v13, 0x3f1, v7
	v_add_nc_u32_e32 v7, 0xfffffc10, v7
	s_wait_alu 0xfffd
	v_cndmask_b32_e64 v0, 0, 1, vcc_lo
	v_cmp_ne_u32_e32 vcc_lo, 0, v9
	s_delay_alu instid0(VALU_DEP_2) | instskip(SKIP_4) | instid1(VALU_DEP_3)
	v_and_or_b32 v0, 0xffe, v5, v0
	s_wait_alu 0xfffd
	v_cndmask_b32_e64 v9, 0, 1, vcc_lo
	v_sub_nc_u32_e32 v5, 0x3f1, v12
	v_add_nc_u32_e32 v12, 0xfffffc10, v12
	v_and_or_b32 v9, 0xffe, v11, v9
	v_med3_i32 v11, v13, 0, 13
	v_or_b32_e32 v13, 0x1000, v0
	v_med3_i32 v5, v5, 0, 13
	s_delay_alu instid0(VALU_DEP_4) | instskip(NEXT) | instid1(VALU_DEP_3)
	v_or_b32_e32 v14, 0x1000, v9
	v_lshrrev_b32_e32 v15, v11, v13
	s_delay_alu instid0(VALU_DEP_2) | instskip(NEXT) | instid1(VALU_DEP_2)
	v_lshrrev_b32_e32 v16, v5, v14
	v_lshlrev_b32_e32 v11, v11, v15
	s_delay_alu instid0(VALU_DEP_2) | instskip(NEXT) | instid1(VALU_DEP_2)
	v_lshlrev_b32_e32 v5, v5, v16
	v_cmp_ne_u32_e32 vcc_lo, v11, v13
	v_lshl_or_b32 v13, v7, 12, v0
	s_wait_alu 0xfffd
	v_cndmask_b32_e64 v11, 0, 1, vcc_lo
	v_cmp_ne_u32_e32 vcc_lo, v5, v14
	v_lshl_or_b32 v14, v12, 12, v9
	s_delay_alu instid0(VALU_DEP_3) | instskip(SKIP_3) | instid1(VALU_DEP_2)
	v_or_b32_e32 v11, v15, v11
	s_wait_alu 0xfffd
	v_cndmask_b32_e64 v5, 0, 1, vcc_lo
	v_cmp_gt_i32_e32 vcc_lo, 1, v7
	v_or_b32_e32 v5, v16, v5
	s_wait_alu 0xfffd
	v_cndmask_b32_e32 v11, v13, v11, vcc_lo
	v_cmp_gt_i32_e32 vcc_lo, 1, v12
	s_delay_alu instid0(VALU_DEP_2)
	v_and_b32_e32 v13, 7, v11
	s_wait_alu 0xfffd
	v_cndmask_b32_e32 v5, v14, v5, vcc_lo
	v_cmp_ne_u32_e32 vcc_lo, 0, v0
	v_lshrrev_b32_e32 v11, 2, v11
	v_cmp_eq_u32_e64 s0, 3, v13
	s_delay_alu instid0(VALU_DEP_4)
	v_and_b32_e32 v14, 7, v5
	s_wait_alu 0xfffd
	v_cndmask_b32_e64 v0, 0, 1, vcc_lo
	v_cmp_ne_u32_e32 vcc_lo, 0, v9
	v_lshrrev_b32_e32 v5, 2, v5
	v_cmp_lt_i32_e64 s1, 5, v14
	v_cmp_eq_u32_e64 s2, 3, v14
	s_wait_alu 0xfffd
	v_cndmask_b32_e64 v9, 0, 1, vcc_lo
	v_cmp_lt_i32_e32 vcc_lo, 5, v13
	v_lshl_or_b32 v0, v0, 9, 0x7c00
	s_delay_alu instid0(VALU_DEP_3)
	v_lshl_or_b32 v9, v9, 9, 0x7c00
	s_or_b32 vcc_lo, s0, vcc_lo
	s_wait_alu 0xfffe
	v_add_co_ci_u32_e32 v11, vcc_lo, 0, v11, vcc_lo
	s_or_b32 vcc_lo, s2, s1
	s_wait_alu 0xfffe
	v_add_co_ci_u32_e32 v5, vcc_lo, 0, v5, vcc_lo
	v_cmp_gt_i32_e32 vcc_lo, 31, v7
	s_wait_alu 0xfffd
	v_cndmask_b32_e32 v11, 0x7c00, v11, vcc_lo
	v_cmp_gt_i32_e32 vcc_lo, 31, v12
	s_wait_alu 0xfffd
	v_cndmask_b32_e32 v5, 0x7c00, v5, vcc_lo
	v_cmp_eq_u32_e32 vcc_lo, 0x40f, v7
	v_lshrrev_b32_e32 v7, 16, v10
	s_wait_alu 0xfffd
	v_cndmask_b32_e32 v0, v11, v0, vcc_lo
	v_cmp_eq_u32_e32 vcc_lo, 0x40f, v12
	s_delay_alu instid0(VALU_DEP_2)
	v_and_or_b32 v0, 0x8000, v8, v0
	s_wait_alu 0xfffd
	v_cndmask_b32_e32 v5, v5, v9, vcc_lo
	v_add_co_u32 v3, vcc_lo, v3, s10
	s_wait_alu 0xfffd
	v_add_co_ci_u32_e32 v4, vcc_lo, s11, v4, vcc_lo
	s_delay_alu instid0(VALU_DEP_3) | instskip(SKIP_1) | instid1(VALU_DEP_1)
	v_and_or_b32 v5, 0x8000, v7, v5
	v_and_b32_e32 v0, 0xffff, v0
	v_lshl_or_b32 v0, v5, 16, v0
	v_lshrrev_b32_e32 v5, 16, v6
	global_store_b32 v[3:4], v0, off
	global_load_b32 v0, v30, s[12:13] offset:2688
	s_wait_loadcnt 0x0
	v_lshrrev_b32_e32 v7, 16, v0
	s_delay_alu instid0(VALU_DEP_1) | instskip(SKIP_1) | instid1(VALU_DEP_2)
	v_mul_f16_e32 v8, v5, v7
	v_mul_f16_e32 v7, v6, v7
	v_fmac_f16_e32 v8, v6, v0
	s_delay_alu instid0(VALU_DEP_2) | instskip(NEXT) | instid1(VALU_DEP_2)
	v_fma_f16 v0, v0, v5, -v7
	v_cvt_f32_f16_e32 v5, v8
	s_delay_alu instid0(VALU_DEP_2) | instskip(NEXT) | instid1(VALU_DEP_2)
	v_cvt_f32_f16_e32 v0, v0
	v_cvt_f64_f32_e32 v[5:6], v5
	s_delay_alu instid0(VALU_DEP_2) | instskip(NEXT) | instid1(VALU_DEP_2)
	v_cvt_f64_f32_e32 v[7:8], v0
	v_mul_f64_e32 v[5:6], s[8:9], v[5:6]
	s_delay_alu instid0(VALU_DEP_2) | instskip(NEXT) | instid1(VALU_DEP_2)
	v_mul_f64_e32 v[7:8], s[8:9], v[7:8]
	v_and_or_b32 v0, 0x1ff, v6, v5
	s_delay_alu instid0(VALU_DEP_2)
	v_and_or_b32 v7, 0x1ff, v8, v7
	v_lshrrev_b32_e32 v5, 8, v6
	v_bfe_u32 v9, v6, 20, 11
	v_lshrrev_b32_e32 v10, 8, v8
	v_cmp_ne_u32_e32 vcc_lo, 0, v0
	v_bfe_u32 v11, v8, 20, 11
	v_lshrrev_b32_e32 v6, 16, v6
	v_sub_nc_u32_e32 v12, 0x3f1, v9
	v_add_nc_u32_e32 v9, 0xfffffc10, v9
	s_wait_alu 0xfffd
	v_cndmask_b32_e64 v0, 0, 1, vcc_lo
	v_cmp_ne_u32_e32 vcc_lo, 0, v7
	v_lshrrev_b32_e32 v8, 16, v8
	s_delay_alu instid0(VALU_DEP_3) | instskip(SKIP_4) | instid1(VALU_DEP_3)
	v_and_or_b32 v0, 0xffe, v5, v0
	s_wait_alu 0xfffd
	v_cndmask_b32_e64 v7, 0, 1, vcc_lo
	v_sub_nc_u32_e32 v5, 0x3f1, v11
	v_add_nc_u32_e32 v11, 0xfffffc10, v11
	v_and_or_b32 v7, 0xffe, v10, v7
	v_med3_i32 v10, v12, 0, 13
	v_or_b32_e32 v12, 0x1000, v0
	v_med3_i32 v5, v5, 0, 13
	s_delay_alu instid0(VALU_DEP_4) | instskip(NEXT) | instid1(VALU_DEP_3)
	v_or_b32_e32 v13, 0x1000, v7
	v_lshrrev_b32_e32 v14, v10, v12
	s_delay_alu instid0(VALU_DEP_2) | instskip(NEXT) | instid1(VALU_DEP_2)
	v_lshrrev_b32_e32 v15, v5, v13
	v_lshlrev_b32_e32 v10, v10, v14
	s_delay_alu instid0(VALU_DEP_2) | instskip(NEXT) | instid1(VALU_DEP_2)
	v_lshlrev_b32_e32 v5, v5, v15
	v_cmp_ne_u32_e32 vcc_lo, v10, v12
	v_lshl_or_b32 v12, v9, 12, v0
	s_wait_alu 0xfffd
	v_cndmask_b32_e64 v10, 0, 1, vcc_lo
	v_cmp_ne_u32_e32 vcc_lo, v5, v13
	v_lshl_or_b32 v13, v11, 12, v7
	s_delay_alu instid0(VALU_DEP_3) | instskip(SKIP_3) | instid1(VALU_DEP_2)
	v_or_b32_e32 v10, v14, v10
	s_wait_alu 0xfffd
	v_cndmask_b32_e64 v5, 0, 1, vcc_lo
	v_cmp_gt_i32_e32 vcc_lo, 1, v9
	v_or_b32_e32 v5, v15, v5
	s_wait_alu 0xfffd
	v_cndmask_b32_e32 v10, v12, v10, vcc_lo
	v_cmp_gt_i32_e32 vcc_lo, 1, v11
	s_wait_alu 0xfffd
	s_delay_alu instid0(VALU_DEP_2) | instskip(SKIP_2) | instid1(VALU_DEP_3)
	v_dual_cndmask_b32 v5, v13, v5 :: v_dual_and_b32 v12, 7, v10
	v_cmp_ne_u32_e32 vcc_lo, 0, v0
	v_lshrrev_b32_e32 v10, 2, v10
	v_cmp_eq_u32_e64 s0, 3, v12
	s_delay_alu instid0(VALU_DEP_4)
	v_and_b32_e32 v13, 7, v5
	s_wait_alu 0xfffd
	v_cndmask_b32_e64 v0, 0, 1, vcc_lo
	v_cmp_ne_u32_e32 vcc_lo, 0, v7
	v_lshrrev_b32_e32 v5, 2, v5
	v_cmp_lt_i32_e64 s1, 5, v13
	v_cmp_eq_u32_e64 s2, 3, v13
	s_wait_alu 0xfffd
	v_cndmask_b32_e64 v7, 0, 1, vcc_lo
	v_cmp_lt_i32_e32 vcc_lo, 5, v12
	v_lshl_or_b32 v0, v0, 9, 0x7c00
	s_delay_alu instid0(VALU_DEP_3)
	v_lshl_or_b32 v7, v7, 9, 0x7c00
	s_or_b32 vcc_lo, s0, vcc_lo
	s_wait_alu 0xfffe
	v_add_co_ci_u32_e32 v10, vcc_lo, 0, v10, vcc_lo
	s_or_b32 vcc_lo, s2, s1
	s_wait_alu 0xfffe
	v_add_co_ci_u32_e32 v5, vcc_lo, 0, v5, vcc_lo
	v_cmp_gt_i32_e32 vcc_lo, 31, v9
	s_wait_alu 0xfffd
	v_cndmask_b32_e32 v10, 0x7c00, v10, vcc_lo
	v_cmp_gt_i32_e32 vcc_lo, 31, v11
	s_wait_alu 0xfffd
	v_cndmask_b32_e32 v5, 0x7c00, v5, vcc_lo
	v_cmp_eq_u32_e32 vcc_lo, 0x40f, v9
	s_wait_alu 0xfffd
	v_cndmask_b32_e32 v0, v10, v0, vcc_lo
	v_cmp_eq_u32_e32 vcc_lo, 0x40f, v11
	s_delay_alu instid0(VALU_DEP_2)
	v_and_or_b32 v0, 0x8000, v6, v0
	s_wait_alu 0xfffd
	v_cndmask_b32_e32 v5, v5, v7, vcc_lo
	v_add_co_u32 v3, vcc_lo, v3, s6
	s_wait_alu 0xfffd
	v_add_co_ci_u32_e32 v4, vcc_lo, s7, v4, vcc_lo
	s_delay_alu instid0(VALU_DEP_3) | instskip(SKIP_1) | instid1(VALU_DEP_1)
	v_and_or_b32 v5, 0x8000, v8, v5
	v_and_b32_e32 v0, 0xffff, v0
	v_lshl_or_b32 v0, v5, 16, v0
	v_add_nc_u32_e32 v5, 0xa00, v30
	global_store_b32 v[3:4], v0, off
	global_load_b32 v0, v30, s[12:13] offset:2880
	ds_load_2addr_b32 v[5:6], v5 offset0:80 offset1:128
	s_wait_dscnt 0x0
	v_lshrrev_b32_e32 v7, 16, v5
	s_wait_loadcnt 0x0
	v_lshrrev_b32_e32 v8, 16, v0
	s_delay_alu instid0(VALU_DEP_1) | instskip(SKIP_1) | instid1(VALU_DEP_2)
	v_mul_f16_e32 v9, v7, v8
	v_mul_f16_e32 v8, v5, v8
	v_fmac_f16_e32 v9, v5, v0
	s_delay_alu instid0(VALU_DEP_2) | instskip(NEXT) | instid1(VALU_DEP_2)
	v_fma_f16 v0, v0, v7, -v8
	v_cvt_f32_f16_e32 v5, v9
	s_delay_alu instid0(VALU_DEP_2) | instskip(NEXT) | instid1(VALU_DEP_2)
	v_cvt_f32_f16_e32 v0, v0
	v_cvt_f64_f32_e32 v[7:8], v5
	s_delay_alu instid0(VALU_DEP_2) | instskip(NEXT) | instid1(VALU_DEP_2)
	v_cvt_f64_f32_e32 v[9:10], v0
	v_mul_f64_e32 v[7:8], s[8:9], v[7:8]
	s_delay_alu instid0(VALU_DEP_2) | instskip(NEXT) | instid1(VALU_DEP_2)
	v_mul_f64_e32 v[9:10], s[8:9], v[9:10]
	v_and_or_b32 v0, 0x1ff, v8, v7
	s_delay_alu instid0(VALU_DEP_2)
	v_and_or_b32 v9, 0x1ff, v10, v9
	v_lshrrev_b32_e32 v5, 8, v8
	v_bfe_u32 v7, v8, 20, 11
	v_lshrrev_b32_e32 v11, 8, v10
	v_cmp_ne_u32_e32 vcc_lo, 0, v0
	v_bfe_u32 v12, v10, 20, 11
	v_lshrrev_b32_e32 v8, 16, v8
	v_sub_nc_u32_e32 v13, 0x3f1, v7
	v_add_nc_u32_e32 v7, 0xfffffc10, v7
	s_wait_alu 0xfffd
	v_cndmask_b32_e64 v0, 0, 1, vcc_lo
	v_cmp_ne_u32_e32 vcc_lo, 0, v9
	s_delay_alu instid0(VALU_DEP_2) | instskip(SKIP_4) | instid1(VALU_DEP_3)
	v_and_or_b32 v0, 0xffe, v5, v0
	s_wait_alu 0xfffd
	v_cndmask_b32_e64 v9, 0, 1, vcc_lo
	v_sub_nc_u32_e32 v5, 0x3f1, v12
	v_add_nc_u32_e32 v12, 0xfffffc10, v12
	v_and_or_b32 v9, 0xffe, v11, v9
	v_med3_i32 v11, v13, 0, 13
	v_or_b32_e32 v13, 0x1000, v0
	v_med3_i32 v5, v5, 0, 13
	s_delay_alu instid0(VALU_DEP_4) | instskip(NEXT) | instid1(VALU_DEP_3)
	v_or_b32_e32 v14, 0x1000, v9
	v_lshrrev_b32_e32 v15, v11, v13
	s_delay_alu instid0(VALU_DEP_2) | instskip(NEXT) | instid1(VALU_DEP_2)
	v_lshrrev_b32_e32 v16, v5, v14
	v_lshlrev_b32_e32 v11, v11, v15
	s_delay_alu instid0(VALU_DEP_2) | instskip(NEXT) | instid1(VALU_DEP_2)
	v_lshlrev_b32_e32 v5, v5, v16
	v_cmp_ne_u32_e32 vcc_lo, v11, v13
	v_lshl_or_b32 v13, v7, 12, v0
	s_wait_alu 0xfffd
	v_cndmask_b32_e64 v11, 0, 1, vcc_lo
	v_cmp_ne_u32_e32 vcc_lo, v5, v14
	v_lshl_or_b32 v14, v12, 12, v9
	s_delay_alu instid0(VALU_DEP_3) | instskip(SKIP_3) | instid1(VALU_DEP_2)
	v_or_b32_e32 v11, v15, v11
	s_wait_alu 0xfffd
	v_cndmask_b32_e64 v5, 0, 1, vcc_lo
	v_cmp_gt_i32_e32 vcc_lo, 1, v7
	v_or_b32_e32 v5, v16, v5
	s_wait_alu 0xfffd
	v_cndmask_b32_e32 v11, v13, v11, vcc_lo
	v_cmp_gt_i32_e32 vcc_lo, 1, v12
	s_delay_alu instid0(VALU_DEP_2)
	v_and_b32_e32 v13, 7, v11
	s_wait_alu 0xfffd
	v_cndmask_b32_e32 v5, v14, v5, vcc_lo
	v_cmp_ne_u32_e32 vcc_lo, 0, v0
	v_lshrrev_b32_e32 v11, 2, v11
	v_cmp_eq_u32_e64 s0, 3, v13
	s_delay_alu instid0(VALU_DEP_4)
	v_and_b32_e32 v14, 7, v5
	s_wait_alu 0xfffd
	v_cndmask_b32_e64 v0, 0, 1, vcc_lo
	v_cmp_ne_u32_e32 vcc_lo, 0, v9
	v_lshrrev_b32_e32 v5, 2, v5
	v_cmp_lt_i32_e64 s1, 5, v14
	v_cmp_eq_u32_e64 s2, 3, v14
	s_wait_alu 0xfffd
	v_cndmask_b32_e64 v9, 0, 1, vcc_lo
	v_cmp_lt_i32_e32 vcc_lo, 5, v13
	v_lshl_or_b32 v0, v0, 9, 0x7c00
	s_delay_alu instid0(VALU_DEP_3)
	v_lshl_or_b32 v9, v9, 9, 0x7c00
	s_or_b32 vcc_lo, s0, vcc_lo
	s_wait_alu 0xfffe
	v_add_co_ci_u32_e32 v11, vcc_lo, 0, v11, vcc_lo
	s_or_b32 vcc_lo, s2, s1
	s_wait_alu 0xfffe
	v_add_co_ci_u32_e32 v5, vcc_lo, 0, v5, vcc_lo
	v_cmp_gt_i32_e32 vcc_lo, 31, v7
	s_wait_alu 0xfffd
	v_cndmask_b32_e32 v11, 0x7c00, v11, vcc_lo
	v_cmp_gt_i32_e32 vcc_lo, 31, v12
	s_wait_alu 0xfffd
	v_cndmask_b32_e32 v5, 0x7c00, v5, vcc_lo
	v_cmp_eq_u32_e32 vcc_lo, 0x40f, v7
	v_lshrrev_b32_e32 v7, 16, v10
	s_wait_alu 0xfffd
	v_cndmask_b32_e32 v0, v11, v0, vcc_lo
	v_cmp_eq_u32_e32 vcc_lo, 0x40f, v12
	s_delay_alu instid0(VALU_DEP_2)
	v_and_or_b32 v0, 0x8000, v8, v0
	s_wait_alu 0xfffd
	v_cndmask_b32_e32 v5, v5, v9, vcc_lo
	v_add_co_u32 v3, vcc_lo, v3, s6
	s_wait_alu 0xfffd
	v_add_co_ci_u32_e32 v4, vcc_lo, s7, v4, vcc_lo
	s_delay_alu instid0(VALU_DEP_3) | instskip(SKIP_1) | instid1(VALU_DEP_1)
	v_and_or_b32 v5, 0x8000, v7, v5
	v_and_b32_e32 v0, 0xffff, v0
	v_lshl_or_b32 v0, v5, 16, v0
	global_store_b32 v[3:4], v0, off
	global_load_b32 v0, v30, s[12:13] offset:3072
	v_lshrrev_b32_e32 v3, 16, v6
	s_wait_loadcnt 0x0
	v_lshrrev_b32_e32 v4, 16, v0
	s_delay_alu instid0(VALU_DEP_1) | instskip(SKIP_1) | instid1(VALU_DEP_2)
	v_mul_f16_e32 v5, v3, v4
	v_mul_f16_e32 v4, v6, v4
	v_fmac_f16_e32 v5, v6, v0
	s_delay_alu instid0(VALU_DEP_2) | instskip(NEXT) | instid1(VALU_DEP_2)
	v_fma_f16 v0, v0, v3, -v4
	v_cvt_f32_f16_e32 v3, v5
	s_delay_alu instid0(VALU_DEP_2) | instskip(NEXT) | instid1(VALU_DEP_2)
	v_cvt_f32_f16_e32 v0, v0
	v_cvt_f64_f32_e32 v[3:4], v3
	s_delay_alu instid0(VALU_DEP_2) | instskip(NEXT) | instid1(VALU_DEP_2)
	v_cvt_f64_f32_e32 v[5:6], v0
	v_mul_f64_e32 v[3:4], s[8:9], v[3:4]
	s_delay_alu instid0(VALU_DEP_2) | instskip(NEXT) | instid1(VALU_DEP_2)
	v_mul_f64_e32 v[5:6], s[8:9], v[5:6]
	v_and_or_b32 v0, 0x1ff, v4, v3
	s_delay_alu instid0(VALU_DEP_2)
	v_and_or_b32 v5, 0x1ff, v6, v5
	v_lshrrev_b32_e32 v3, 8, v4
	v_bfe_u32 v9, v4, 20, 11
	v_lshrrev_b32_e32 v7, 8, v6
	v_cmp_ne_u32_e32 vcc_lo, 0, v0
	v_bfe_u32 v10, v6, 20, 11
	s_delay_alu instid0(VALU_DEP_4)
	v_sub_nc_u32_e32 v8, 0x3f1, v9
	s_wait_alu 0xfffd
	v_cndmask_b32_e64 v0, 0, 1, vcc_lo
	v_cmp_ne_u32_e32 vcc_lo, 0, v5
	v_sub_nc_u32_e32 v11, 0x3f1, v10
	v_add_nc_u32_e32 v10, 0xfffffc10, v10
	s_delay_alu instid0(VALU_DEP_4)
	v_and_or_b32 v0, 0xffe, v3, v0
	s_wait_alu 0xfffd
	v_cndmask_b32_e64 v5, 0, 1, vcc_lo
	v_med3_i32 v3, v8, 0, 13
	v_med3_i32 v11, v11, 0, 13
	v_or_b32_e32 v12, 0x1000, v0
	s_delay_alu instid0(VALU_DEP_4) | instskip(SKIP_1) | instid1(VALU_DEP_3)
	v_and_or_b32 v5, 0xffe, v7, v5
	v_mad_co_u64_u32 v[7:8], null, s4, v223, 0
	v_lshrrev_b32_e32 v14, v3, v12
	s_delay_alu instid0(VALU_DEP_3) | instskip(NEXT) | instid1(VALU_DEP_2)
	v_or_b32_e32 v13, 0x1000, v5
	v_lshlrev_b32_e32 v16, v3, v14
	s_delay_alu instid0(VALU_DEP_2) | instskip(SKIP_1) | instid1(VALU_DEP_3)
	v_lshrrev_b32_e32 v15, v11, v13
	v_mov_b32_e32 v3, v8
	v_cmp_ne_u32_e32 vcc_lo, v16, v12
	s_delay_alu instid0(VALU_DEP_3) | instskip(SKIP_3) | instid1(VALU_DEP_3)
	v_lshlrev_b32_e32 v8, v11, v15
	v_add_nc_u32_e32 v11, 0xfffffc10, v9
	s_wait_alu 0xfffd
	v_cndmask_b32_e64 v12, 0, 1, vcc_lo
	v_cmp_ne_u32_e32 vcc_lo, v8, v13
	v_mad_co_u64_u32 v[8:9], null, s5, v223, v[3:4]
	v_lshl_or_b32 v3, v11, 12, v0
	s_delay_alu instid0(VALU_DEP_4)
	v_or_b32_e32 v9, v14, v12
	s_wait_alu 0xfffd
	v_cndmask_b32_e64 v13, 0, 1, vcc_lo
	v_cmp_gt_i32_e32 vcc_lo, 1, v11
	v_lshl_or_b32 v12, v10, 12, v5
	v_lshrrev_b32_e32 v4, 16, v4
	s_delay_alu instid0(VALU_DEP_4)
	v_or_b32_e32 v13, v15, v13
	s_wait_alu 0xfffd
	v_cndmask_b32_e32 v3, v3, v9, vcc_lo
	v_cmp_gt_i32_e32 vcc_lo, 1, v10
	s_wait_alu 0xfffd
	v_cndmask_b32_e32 v9, v12, v13, vcc_lo
	v_cmp_ne_u32_e32 vcc_lo, 0, v0
	v_and_b32_e32 v12, 7, v3
	v_lshrrev_b32_e32 v3, 2, v3
	s_delay_alu instid0(VALU_DEP_4)
	v_and_b32_e32 v13, 7, v9
	s_wait_alu 0xfffd
	v_cndmask_b32_e64 v0, 0, 1, vcc_lo
	v_cmp_ne_u32_e32 vcc_lo, 0, v5
	v_cmp_eq_u32_e64 s0, 3, v12
	v_lshrrev_b32_e32 v9, 2, v9
	v_cmp_lt_i32_e64 s1, 5, v13
	v_cmp_eq_u32_e64 s2, 3, v13
	s_wait_alu 0xfffd
	v_cndmask_b32_e64 v5, 0, 1, vcc_lo
	v_cmp_lt_i32_e32 vcc_lo, 5, v12
	v_lshl_or_b32 v0, v0, 9, 0x7c00
	s_delay_alu instid0(VALU_DEP_3)
	v_lshl_or_b32 v5, v5, 9, 0x7c00
	s_or_b32 vcc_lo, s0, vcc_lo
	s_wait_alu 0xfffe
	v_add_co_ci_u32_e32 v3, vcc_lo, 0, v3, vcc_lo
	s_or_b32 vcc_lo, s2, s1
	s_wait_alu 0xfffe
	v_add_co_ci_u32_e32 v9, vcc_lo, 0, v9, vcc_lo
	v_cmp_gt_i32_e32 vcc_lo, 31, v11
	s_wait_alu 0xfffd
	v_cndmask_b32_e32 v3, 0x7c00, v3, vcc_lo
	v_cmp_gt_i32_e32 vcc_lo, 31, v10
	s_wait_alu 0xfffd
	v_cndmask_b32_e32 v9, 0x7c00, v9, vcc_lo
	v_cmp_eq_u32_e32 vcc_lo, 0x40f, v11
	s_wait_alu 0xfffd
	v_cndmask_b32_e32 v0, v3, v0, vcc_lo
	v_cmp_eq_u32_e32 vcc_lo, 0x40f, v10
	v_lshrrev_b32_e32 v3, 16, v6
	s_delay_alu instid0(VALU_DEP_3) | instskip(SKIP_1) | instid1(VALU_DEP_1)
	v_and_or_b32 v0, 0x8000, v4, v0
	s_wait_alu 0xfffd
	v_dual_cndmask_b32 v5, v9, v5 :: v_dual_and_b32 v0, 0xffff, v0
	s_delay_alu instid0(VALU_DEP_1) | instskip(SKIP_1) | instid1(VALU_DEP_2)
	v_and_or_b32 v5, 0x8000, v3, v5
	v_lshlrev_b64_e32 v[3:4], 2, v[7:8]
	v_lshl_or_b32 v5, v5, 16, v0
	s_delay_alu instid0(VALU_DEP_2) | instskip(SKIP_1) | instid1(VALU_DEP_3)
	v_add_co_u32 v0, vcc_lo, v1, v3
	s_wait_alu 0xfffd
	v_add_co_ci_u32_e32 v1, vcc_lo, v2, v4, vcc_lo
	global_store_b32 v[0:1], v5, off
.LBB0_23:
	s_nop 0
	s_sendmsg sendmsg(MSG_DEALLOC_VGPRS)
	s_endpgm
	.section	.rodata,"a",@progbits
	.p2align	6, 0x0
	.amdhsa_kernel bluestein_single_back_len816_dim1_half_op_CI_CI
		.amdhsa_group_segment_fixed_size 3264
		.amdhsa_private_segment_fixed_size 112
		.amdhsa_kernarg_size 104
		.amdhsa_user_sgpr_count 2
		.amdhsa_user_sgpr_dispatch_ptr 0
		.amdhsa_user_sgpr_queue_ptr 0
		.amdhsa_user_sgpr_kernarg_segment_ptr 1
		.amdhsa_user_sgpr_dispatch_id 0
		.amdhsa_user_sgpr_private_segment_size 0
		.amdhsa_wavefront_size32 1
		.amdhsa_uses_dynamic_stack 0
		.amdhsa_enable_private_segment 1
		.amdhsa_system_sgpr_workgroup_id_x 1
		.amdhsa_system_sgpr_workgroup_id_y 0
		.amdhsa_system_sgpr_workgroup_id_z 0
		.amdhsa_system_sgpr_workgroup_info 0
		.amdhsa_system_vgpr_workitem_id 0
		.amdhsa_next_free_vgpr 256
		.amdhsa_next_free_sgpr 16
		.amdhsa_reserve_vcc 1
		.amdhsa_float_round_mode_32 0
		.amdhsa_float_round_mode_16_64 0
		.amdhsa_float_denorm_mode_32 3
		.amdhsa_float_denorm_mode_16_64 3
		.amdhsa_fp16_overflow 0
		.amdhsa_workgroup_processor_mode 1
		.amdhsa_memory_ordered 1
		.amdhsa_forward_progress 0
		.amdhsa_round_robin_scheduling 0
		.amdhsa_exception_fp_ieee_invalid_op 0
		.amdhsa_exception_fp_denorm_src 0
		.amdhsa_exception_fp_ieee_div_zero 0
		.amdhsa_exception_fp_ieee_overflow 0
		.amdhsa_exception_fp_ieee_underflow 0
		.amdhsa_exception_fp_ieee_inexact 0
		.amdhsa_exception_int_div_zero 0
	.end_amdhsa_kernel
	.text
.Lfunc_end0:
	.size	bluestein_single_back_len816_dim1_half_op_CI_CI, .Lfunc_end0-bluestein_single_back_len816_dim1_half_op_CI_CI
                                        ; -- End function
	.section	.AMDGPU.csdata,"",@progbits
; Kernel info:
; codeLenInByte = 40200
; NumSgprs: 18
; NumVgprs: 256
; ScratchSize: 112
; MemoryBound: 0
; FloatMode: 240
; IeeeMode: 1
; LDSByteSize: 3264 bytes/workgroup (compile time only)
; SGPRBlocks: 2
; VGPRBlocks: 31
; NumSGPRsForWavesPerEU: 18
; NumVGPRsForWavesPerEU: 256
; Occupancy: 5
; WaveLimiterHint : 1
; COMPUTE_PGM_RSRC2:SCRATCH_EN: 1
; COMPUTE_PGM_RSRC2:USER_SGPR: 2
; COMPUTE_PGM_RSRC2:TRAP_HANDLER: 0
; COMPUTE_PGM_RSRC2:TGID_X_EN: 1
; COMPUTE_PGM_RSRC2:TGID_Y_EN: 0
; COMPUTE_PGM_RSRC2:TGID_Z_EN: 0
; COMPUTE_PGM_RSRC2:TIDIG_COMP_CNT: 0
	.text
	.p2alignl 7, 3214868480
	.fill 96, 4, 3214868480
	.type	__hip_cuid_efbe95a2b30a42d5,@object ; @__hip_cuid_efbe95a2b30a42d5
	.section	.bss,"aw",@nobits
	.globl	__hip_cuid_efbe95a2b30a42d5
__hip_cuid_efbe95a2b30a42d5:
	.byte	0                               ; 0x0
	.size	__hip_cuid_efbe95a2b30a42d5, 1

	.ident	"AMD clang version 19.0.0git (https://github.com/RadeonOpenCompute/llvm-project roc-6.4.0 25133 c7fe45cf4b819c5991fe208aaa96edf142730f1d)"
	.section	".note.GNU-stack","",@progbits
	.addrsig
	.addrsig_sym __hip_cuid_efbe95a2b30a42d5
	.amdgpu_metadata
---
amdhsa.kernels:
  - .args:
      - .actual_access:  read_only
        .address_space:  global
        .offset:         0
        .size:           8
        .value_kind:     global_buffer
      - .actual_access:  read_only
        .address_space:  global
        .offset:         8
        .size:           8
        .value_kind:     global_buffer
      - .actual_access:  read_only
        .address_space:  global
        .offset:         16
        .size:           8
        .value_kind:     global_buffer
      - .actual_access:  read_only
        .address_space:  global
        .offset:         24
        .size:           8
        .value_kind:     global_buffer
      - .actual_access:  read_only
        .address_space:  global
        .offset:         32
        .size:           8
        .value_kind:     global_buffer
      - .offset:         40
        .size:           8
        .value_kind:     by_value
      - .address_space:  global
        .offset:         48
        .size:           8
        .value_kind:     global_buffer
      - .address_space:  global
        .offset:         56
        .size:           8
        .value_kind:     global_buffer
      - .address_space:  global
        .offset:         64
        .size:           8
        .value_kind:     global_buffer
      - .address_space:  global
        .offset:         72
        .size:           8
        .value_kind:     global_buffer
      - .offset:         80
        .size:           4
        .value_kind:     by_value
      - .address_space:  global
        .offset:         88
        .size:           8
        .value_kind:     global_buffer
      - .address_space:  global
        .offset:         96
        .size:           8
        .value_kind:     global_buffer
    .group_segment_fixed_size: 3264
    .kernarg_segment_align: 8
    .kernarg_segment_size: 104
    .language:       OpenCL C
    .language_version:
      - 2
      - 0
    .max_flat_workgroup_size: 51
    .name:           bluestein_single_back_len816_dim1_half_op_CI_CI
    .private_segment_fixed_size: 112
    .sgpr_count:     18
    .sgpr_spill_count: 0
    .symbol:         bluestein_single_back_len816_dim1_half_op_CI_CI.kd
    .uniform_work_group_size: 1
    .uses_dynamic_stack: false
    .vgpr_count:     256
    .vgpr_spill_count: 27
    .wavefront_size: 32
    .workgroup_processor_mode: 1
amdhsa.target:   amdgcn-amd-amdhsa--gfx1201
amdhsa.version:
  - 1
  - 2
...

	.end_amdgpu_metadata
